;; amdgpu-corpus repo=ROCm/rocFFT kind=compiled arch=gfx950 opt=O3
	.text
	.amdgcn_target "amdgcn-amd-amdhsa--gfx950"
	.amdhsa_code_object_version 6
	.protected	bluestein_single_fwd_len289_dim1_sp_op_CI_CI ; -- Begin function bluestein_single_fwd_len289_dim1_sp_op_CI_CI
	.globl	bluestein_single_fwd_len289_dim1_sp_op_CI_CI
	.p2align	8
	.type	bluestein_single_fwd_len289_dim1_sp_op_CI_CI,@function
bluestein_single_fwd_len289_dim1_sp_op_CI_CI: ; @bluestein_single_fwd_len289_dim1_sp_op_CI_CI
; %bb.0:
	s_load_dwordx4 s[12:15], s[0:1], 0x28
	v_mul_u32_u24_e32 v1, 0xf10, v0
	v_lshrrev_b32_e32 v2, 16, v1
	v_mad_u64_u32 v[6:7], s[2:3], s2, 7, v[2:3]
	v_mov_b32_e32 v7, 0
	s_waitcnt lgkmcnt(0)
	v_cmp_gt_u64_e32 vcc, s[12:13], v[6:7]
	s_and_saveexec_b64 s[2:3], vcc
	s_cbranch_execz .LBB0_2
; %bb.1:
	s_load_dwordx4 s[8:11], s[0:1], 0x0
	s_load_dwordx4 s[4:7], s[0:1], 0x18
	v_mov_b32_e32 v4, s14
	v_mov_b32_e32 v5, s15
	s_mov_b32 s2, 0x24924925
	v_mul_hi_u32 v1, v6, s2
	s_waitcnt lgkmcnt(0)
	s_load_dwordx4 s[12:15], s[4:5], 0x0
	v_mov_b32_e32 v10, v6
	v_sub_u32_e32 v3, v6, v1
	v_lshrrev_b32_e32 v3, 1, v3
	v_add_u32_e32 v40, v3, v1
	s_waitcnt lgkmcnt(0)
	v_mad_u64_u32 v[6:7], s[2:3], s14, v10, 0
	v_mov_b32_e32 v8, v7
	v_mad_u64_u32 v[8:9], s[2:3], s15, v10, v[8:9]
	v_mul_lo_u16_e32 v1, 17, v2
	v_mov_b32_e32 v7, v8
	v_sub_u16_e32 v8, v0, v1
	v_mad_u64_u32 v[0:1], s[2:3], s12, v8, 0
	v_mov_b32_e32 v2, v1
	v_mad_u64_u32 v[2:3], s[2:3], s13, v8, v[2:3]
	v_mov_b32_e32 v1, v2
	v_lshl_add_u64 v[2:3], v[6:7], 3, v[4:5]
	v_lshl_add_u64 v[0:1], v[0:1], 3, v[2:3]
	v_mov_b32_e32 v4, 0x88
	global_load_dwordx2 v[2:3], v[0:1], off
	v_mad_u64_u32 v[0:1], s[2:3], s12, v4, v[0:1]
	s_mul_i32 s2, s13, 0x88
	v_mov_b32_e32 v74, v10
	v_mov_b32_e32 v10, 0x88
	v_add_u32_e32 v1, s2, v1
	v_lshlrev_b32_e32 v101, 3, v8
	v_mov_b32_e32 v68, v8
	global_load_dwordx2 v[8:9], v[0:1], off
	v_mad_u64_u32 v[0:1], s[4:5], s12, v10, v[0:1]
	v_add_u32_e32 v1, s2, v1
	v_mad_u64_u32 v[6:7], s[4:5], s12, v10, v[0:1]
	v_add_u32_e32 v7, s2, v7
	v_mad_u64_u32 v[10:11], s[4:5], s12, v10, v[6:7]
	global_load_dwordx2 v[4:5], v101, s[8:9]
	global_load_dwordx2 v[72:73], v101, s[8:9] offset:136
	global_load_dwordx2 v[66:67], v101, s[8:9] offset:272
	;; [unrolled: 1-line block ×3, first 2 shown]
	v_add_u32_e32 v11, s2, v11
	global_load_dwordx2 v[12:13], v[0:1], off
	global_load_dwordx2 v[14:15], v[6:7], off
	global_load_dwordx2 v[16:17], v[10:11], off
	v_mov_b32_e32 v6, 0x88
	v_mad_u64_u32 v[0:1], s[4:5], s12, v6, v[10:11]
	v_add_u32_e32 v1, s2, v1
	global_load_dwordx2 v[10:11], v[0:1], off
	v_mad_u64_u32 v[0:1], s[4:5], s12, v6, v[0:1]
	v_mov_b32_e32 v6, 0x88
	v_add_u32_e32 v1, s2, v1
	global_load_dwordx2 v[70:71], v101, s[8:9] offset:544
	global_load_dwordx2 v[18:19], v[0:1], off
	global_load_dwordx2 v[64:65], v101, s[8:9] offset:680
	v_mad_u64_u32 v[0:1], s[4:5], s12, v6, v[0:1]
	v_add_u32_e32 v1, s2, v1
	global_load_dwordx2 v[20:21], v[0:1], off
	global_load_dwordx2 v[60:61], v101, s[8:9] offset:816
	global_load_dwordx2 v[56:57], v101, s[8:9] offset:952
	v_mad_u64_u32 v[0:1], s[4:5], s12, v6, v[0:1]
	v_add_u32_e32 v1, s2, v1
	global_load_dwordx2 v[22:23], v[0:1], off
	v_mad_u64_u32 v[0:1], s[4:5], s12, v6, v[0:1]
	v_add_u32_e32 v1, s2, v1
	global_load_dwordx2 v[24:25], v[0:1], off
	global_load_dwordx2 v[58:59], v101, s[8:9] offset:1088
	v_mad_u64_u32 v[0:1], s[4:5], s12, v6, v[0:1]
	v_add_u32_e32 v1, s2, v1
	global_load_dwordx2 v[54:55], v101, s[8:9] offset:1224
	global_load_dwordx2 v[26:27], v[0:1], off
	v_mad_u64_u32 v[0:1], s[4:5], s12, v6, v[0:1]
	v_add_u32_e32 v1, s2, v1
	global_load_dwordx2 v[52:53], v101, s[8:9] offset:1360
	global_load_dwordx2 v[28:29], v[0:1], off
	global_load_dwordx2 v[50:51], v101, s[8:9] offset:1496
	v_mad_u64_u32 v[0:1], s[4:5], s12, v6, v[0:1]
	v_add_u32_e32 v1, s2, v1
	global_load_dwordx2 v[30:31], v[0:1], off
	v_mad_u64_u32 v[0:1], s[4:5], s12, v6, v[0:1]
	v_add_u32_e32 v1, s2, v1
	global_load_dwordx2 v[48:49], v101, s[8:9] offset:1632
	global_load_dwordx2 v[32:33], v[0:1], off
	global_load_dwordx2 v[46:47], v101, s[8:9] offset:1768
	v_mad_u64_u32 v[0:1], s[4:5], s12, v6, v[0:1]
	v_add_u32_e32 v1, s2, v1
	global_load_dwordx2 v[34:35], v[0:1], off
	global_load_dwordx2 v[44:45], v101, s[8:9] offset:1904
	v_mad_u64_u32 v[0:1], s[4:5], s12, v6, v[0:1]
	v_add_u32_e32 v1, s2, v1
	global_load_dwordx2 v[36:37], v[0:1], off
	global_load_dwordx2 v[42:43], v101, s[8:9] offset:2040
	v_mad_u64_u32 v[0:1], s[4:5], s12, v6, v[0:1]
	v_add_u32_e32 v1, s2, v1
	global_load_dwordx2 v[38:39], v[0:1], off
	global_load_dwordx2 v[6:7], v101, s[8:9] offset:2176
	v_lshrrev_b32_e32 v0, 2, v40
	v_mul_lo_u32 v0, v0, 7
	v_sub_u32_e32 v0, v74, v0
	v_mul_u32_u24_e32 v1, 0x121, v0
	s_load_dwordx4 s[4:7], s[6:7], 0x0
	s_mov_b32 s2, 0xbeb8f4ab
	s_mov_b32 s3, 0x3f6eb680
	;; [unrolled: 1-line block ×19, first 2 shown]
	s_waitcnt vmcnt(31)
	v_mov_b64_e32 v[40:41], v[4:5]
	v_mul_f32_e32 v0, v3, v41
	v_lshlrev_b32_e32 v4, 3, v1
	v_mul_f32_e32 v1, v2, v41
	v_fmac_f32_e32 v0, v2, v40
	v_fma_f32 v1, v3, v40, -v1
	s_waitcnt vmcnt(30)
	v_mul_f32_e32 v2, v9, v73
	v_mul_f32_e32 v3, v8, v73
	v_add_u32_e32 v100, v101, v4
	v_fmac_f32_e32 v2, v8, v72
	v_fma_f32 v3, v9, v72, -v3
	ds_write2_b64 v100, v[0:1], v[2:3] offset1:17
	s_waitcnt vmcnt(27)
	v_mul_f32_e32 v0, v13, v67
	v_mul_f32_e32 v1, v12, v67
	s_waitcnt vmcnt(26)
	v_mul_f32_e32 v2, v15, v63
	v_mul_f32_e32 v3, v14, v63
	v_fmac_f32_e32 v0, v12, v66
	v_fma_f32 v1, v13, v66, -v1
	v_fmac_f32_e32 v2, v14, v62
	v_fma_f32 v3, v15, v62, -v3
	ds_write2_b64 v100, v[0:1], v[2:3] offset0:34 offset1:51
	s_waitcnt vmcnt(23)
	v_mul_f32_e32 v0, v17, v71
	v_mul_f32_e32 v1, v16, v71
	s_waitcnt vmcnt(21)
	v_mul_f32_e32 v2, v11, v65
	v_mul_f32_e32 v3, v10, v65
	v_fmac_f32_e32 v0, v16, v70
	v_fma_f32 v1, v17, v70, -v1
	v_fmac_f32_e32 v2, v10, v64
	v_fma_f32 v3, v11, v64, -v3
	ds_write2_b64 v100, v[0:1], v[2:3] offset0:68 offset1:85
	;; [unrolled: 11-line block ×7, first 2 shown]
	s_waitcnt vmcnt(0)
	v_mul_f32_e32 v0, v39, v7
	v_mul_f32_e32 v1, v38, v7
	v_fmac_f32_e32 v0, v38, v6
	v_fma_f32 v1, v39, v6, -v1
	ds_write_b64 v100, v[0:1] offset:2176
	s_waitcnt lgkmcnt(0)
	s_barrier
	ds_read2_b64 v[8:11], v100 offset0:102 offset1:119
	ds_read2_b64 v[12:15], v100 offset0:170 offset1:187
	;; [unrolled: 1-line block ×5, first 2 shown]
	ds_read_b64 v[36:37], v100 offset:2176
	ds_read2_b64 v[0:3], v100 offset1:17
	ds_read2_b64 v[28:31], v100 offset0:34 offset1:51
	ds_read2_b64 v[32:35], v100 offset0:68 offset1:85
	v_accvgpr_write_b32 a4, v44
	v_accvgpr_write_b32 a5, v45
	s_waitcnt lgkmcnt(2)
	v_pk_add_f32 v[44:45], v[0:1], v[2:3]
	v_pk_add_f32 v[98:99], v[14:15], v[8:9]
	s_waitcnt lgkmcnt(1)
	v_pk_add_f32 v[44:45], v[44:45], v[28:29]
	v_pk_add_f32 v[38:39], v[8:9], v[14:15] neg_lo:[0,1] neg_hi:[0,1]
	v_pk_add_f32 v[44:45], v[44:45], v[30:31]
	v_accvgpr_write_b32 a34, v40
	s_waitcnt lgkmcnt(0)
	v_pk_add_f32 v[44:45], v[44:45], v[32:33]
	v_accvgpr_write_b32 a35, v41
	v_pk_add_f32 v[44:45], v[44:45], v[34:35]
	v_pk_add_f32 v[96:97], v[12:13], v[10:11]
	;; [unrolled: 1-line block ×3, first 2 shown]
	v_pk_add_f32 v[40:41], v[10:11], v[12:13] neg_lo:[0,1] neg_hi:[0,1]
	v_pk_add_f32 v[8:9], v[8:9], v[10:11]
	v_pk_add_f32 v[130:131], v[36:37], v[2:3]
	v_pk_add_f32 v[10:11], v[2:3], v[36:37] neg_lo:[0,1] neg_hi:[0,1]
	v_pk_add_f32 v[2:3], v[8:9], v[16:17]
	v_accvgpr_write_b32 a0, v6
	v_pk_add_f32 v[2:3], v[2:3], v[18:19]
	v_accvgpr_write_b32 a1, v7
	;; [unrolled: 2-line block ×4, first 2 shown]
	v_pk_add_f32 v[2:3], v[2:3], v[20:21]
	v_pk_add_f32 v[94:95], v[18:19], v[16:17]
	;; [unrolled: 1-line block ×3, first 2 shown]
	v_pk_add_f32 v[42:43], v[16:17], v[18:19] neg_lo:[0,1] neg_hi:[0,1]
	v_pk_add_f32 v[2:3], v[2:3], v[24:25]
	v_pk_add_f32 v[132:133], v[26:27], v[28:29]
	;; [unrolled: 1-line block ×3, first 2 shown]
	v_pk_add_f32 v[16:17], v[28:29], v[26:27] neg_lo:[0,1] neg_hi:[0,1]
	v_pk_add_f32 v[36:37], v[2:3], v[36:37]
	v_mov_b32_e32 v3, v131
	v_mov_b32_e32 v131, v10
	;; [unrolled: 1-line block ×3, first 2 shown]
	v_pk_mul_f32 v[6:7], v[130:131], s[46:47]
	v_pk_add_f32 v[128:129], v[24:25], v[30:31]
	v_pk_fma_f32 v[8:9], v[2:3], s[2:3], v[6:7] neg_lo:[1,0,0] neg_hi:[1,0,0]
	v_pk_fma_f32 v[224:225], v[2:3], s[2:3], v[6:7]
	v_accvgpr_write_b32 a37, v7
	v_mov_b32_e32 v9, v225
	v_pk_add_f32 v[14:15], v[0:1], v[8:9]
	v_mov_b32_e32 v9, v133
	v_mov_b32_e32 v133, v16
	v_accvgpr_write_b32 a36, v6
	v_mov_b32_e32 v8, v17
	v_pk_mul_f32 v[6:7], v[132:133], s[54:55]
	v_pk_add_f32 v[18:19], v[30:31], v[24:25] neg_lo:[0,1] neg_hi:[0,1]
	v_pk_fma_f32 v[16:17], v[8:9], s[16:17], v[6:7] neg_lo:[1,0,0] neg_hi:[1,0,0]
	v_pk_fma_f32 v[12:13], v[8:9], s[16:17], v[6:7]
	v_pk_add_f32 v[122:123], v[20:21], v[34:35]
	v_mov_b32_e32 v17, v13
	v_pk_add_f32 v[30:31], v[34:35], v[20:21] neg_lo:[0,1] neg_hi:[0,1]
	v_accvgpr_write_b32 a39, v7
	v_pk_add_f32 v[20:21], v[16:17], v[14:15]
	v_mov_b32_e32 v15, v129
	v_mov_b32_e32 v129, v18
	v_accvgpr_write_b32 a38, v6
	v_mov_b32_e32 v14, v19
	v_pk_mul_f32 v[6:7], v[128:129], s[60:61]
	v_pk_add_f32 v[124:125], v[22:23], v[32:33]
	v_pk_add_f32 v[28:29], v[32:33], v[22:23] neg_lo:[0,1] neg_hi:[0,1]
	v_pk_fma_f32 v[22:23], v[14:15], s[24:25], v[6:7] neg_lo:[1,0,0] neg_hi:[1,0,0]
	v_pk_fma_f32 v[16:17], v[14:15], s[24:25], v[6:7]
	v_accvgpr_write_b32 a41, v7
	v_mov_b32_e32 v23, v17
	v_pk_add_f32 v[26:27], v[22:23], v[20:21]
	v_mov_b32_e32 v21, v125
	v_mov_b32_e32 v125, v28
	v_accvgpr_write_b32 a40, v6
	v_mov_b32_e32 v20, v29
	v_pk_mul_f32 v[6:7], v[124:125], s[52:53]
	s_mov_b32 s45, s12
	v_pk_fma_f32 v[28:29], v[20:21], s[18:19], v[6:7] neg_lo:[1,0,0] neg_hi:[1,0,0]
	v_pk_fma_f32 v[22:23], v[20:21], s[18:19], v[6:7]
	v_accvgpr_write_b32 a43, v7
	v_mov_b32_e32 v29, v23
	v_pk_add_f32 v[32:33], v[28:29], v[26:27]
	v_mov_b32_e32 v27, v123
	v_mov_b32_e32 v123, v30
	v_accvgpr_write_b32 a42, v6
	v_mov_b32_e32 v26, v31
	v_pk_mul_f32 v[6:7], v[122:123], s[44:45]
	s_mov_b32 s14, 0xbf4c4adb
	v_pk_fma_f32 v[34:35], v[26:27], s[12:13], v[6:7] neg_lo:[1,0,0] neg_hi:[1,0,0]
	v_pk_fma_f32 v[28:29], v[26:27], s[12:13], v[6:7]
	s_mov_b32 s15, 0xbf1a4643
	v_mov_b32_e32 v35, v29
	v_accvgpr_write_b32 a45, v7
	v_pk_add_f32 v[44:45], v[34:35], v[32:33]
	v_mov_b32_e32 v33, v99
	v_mov_b32_e32 v99, v38
	s_mov_b32 s48, s15
	s_mov_b32 s49, s14
	;; [unrolled: 1-line block ×3, first 2 shown]
	v_accvgpr_write_b32 a44, v6
	v_pk_mul_f32 v[6:7], v[98:99], s[48:49]
	s_mov_b32 s21, 0xbf59a7d5
	v_mov_b32_e32 v32, v39
	v_accvgpr_write_b32 a47, v7
	v_mov_b32_e32 v75, v97
	v_mov_b32_e32 v97, v40
	s_mov_b32 s50, s21
	s_mov_b32 s51, s20
	;; [unrolled: 1-line block ×3, first 2 shown]
	v_accvgpr_write_b32 a8, v74
	v_pk_fma_f32 v[38:39], v[32:33], s[14:15], v[6:7] neg_lo:[1,0,0] neg_hi:[1,0,0]
	v_pk_fma_f32 v[34:35], v[32:33], s[14:15], v[6:7]
	v_accvgpr_write_b32 a46, v6
	v_mov_b32_e32 v74, v41
	v_pk_mul_f32 v[6:7], v[96:97], s[50:51]
	s_mov_b32 s23, 0xbf7ba420
	v_mov_b32_e32 v39, v35
	v_pk_fma_f32 v[40:41], v[74:75], s[20:21], v[6:7] neg_lo:[1,0,0] neg_hi:[1,0,0]
	v_pk_fma_f32 v[10:11], v[74:75], s[20:21], v[6:7]
	v_accvgpr_write_b32 a49, v7
	v_mov_b32_e32 v81, v95
	v_mov_b32_e32 v95, v42
	s_mov_b32 s56, s23
	s_mov_b32 s57, s22
	v_pk_add_f32 v[38:39], v[38:39], v[44:45]
	v_accvgpr_write_b32 a48, v6
	v_mov_b32_e32 v41, v11
	v_mov_b32_e32 v80, v43
	v_pk_mul_f32 v[6:7], v[94:95], s[56:57]
	v_pk_add_f32 v[38:39], v[40:41], v[38:39]
	v_pk_fma_f32 v[40:41], v[80:81], s[22:23], v[6:7] neg_lo:[1,0,0] neg_hi:[1,0,0]
	v_pk_fma_f32 v[82:83], v[80:81], s[22:23], v[6:7]
	v_mul_lo_u16_e32 v5, 17, v68
	v_mov_b32_e32 v41, v83
	v_pk_add_f32 v[38:39], v[40:41], v[38:39]
	v_lshl_add_u32 v4, v5, 3, v4
	s_barrier
	ds_write2_b64 v4, v[36:37], v[38:39] offset1:1
	v_mov_b32_e32 v11, v4
	v_pk_mul_f32 v[4:5], v[130:131], s[54:55]
	v_accvgpr_write_b32 a51, v7
	v_accvgpr_write_b32 a53, v5
	v_pk_fma_f32 v[36:37], v[2:3], s[16:17], v[4:5] neg_lo:[1,0,0] neg_hi:[1,0,0]
	v_pk_fma_f32 v[86:87], v[2:3], s[16:17], v[4:5]
	v_accvgpr_write_b32 a52, v4
	v_pk_mul_f32 v[4:5], v[132:133], s[52:53]
	v_mov_b32_e32 v37, v87
	v_pk_fma_f32 v[38:39], v[8:9], s[18:19], v[4:5] neg_lo:[1,0,0] neg_hi:[1,0,0]
	v_pk_fma_f32 v[88:89], v[8:9], s[18:19], v[4:5]
	v_accvgpr_write_b32 a55, v5
	v_accvgpr_write_b32 a54, v4
	v_mov_b32_e32 v39, v89
	v_pk_add_f32 v[36:37], v[0:1], v[36:37]
	v_pk_mul_f32 v[4:5], v[128:129], s[48:49]
	v_accvgpr_write_b32 a50, v6
	v_pk_add_f32 v[36:37], v[38:39], v[36:37]
	v_pk_fma_f32 v[38:39], v[14:15], s[14:15], v[4:5] neg_lo:[1,0,0] neg_hi:[1,0,0]
	v_pk_fma_f32 v[6:7], v[14:15], s[14:15], v[4:5]
	v_accvgpr_write_b32 a57, v5
	v_accvgpr_write_b32 a56, v4
	v_mov_b32_e32 v39, v7
	v_pk_mul_f32 v[4:5], v[124:125], s[56:57]
	s_mov_b32 s36, 0x3f06c442
	v_pk_add_f32 v[36:37], v[38:39], v[36:37]
	v_pk_fma_f32 v[38:39], v[20:21], s[22:23], v[4:5] neg_lo:[1,0,0] neg_hi:[1,0,0]
	v_pk_fma_f32 v[102:103], v[20:21], s[22:23], v[4:5]
	v_accvgpr_write_b32 a59, v5
	s_mov_b32 s68, s21
	s_mov_b32 s69, s36
	v_accvgpr_write_b32 a58, v4
	v_mov_b32_e32 v39, v103
	s_mov_b32 s37, s21
	v_pk_mul_f32 v[4:5], v[122:123], s[68:69]
	s_mov_b32 s34, 0x3f763a35
	v_pk_add_f32 v[36:37], v[38:39], v[36:37]
	v_pk_fma_f32 v[38:39], v[26:27], s[36:37], v[4:5] neg_lo:[1,0,0] neg_hi:[1,0,0]
	v_pk_fma_f32 v[104:105], v[26:27], s[36:37], v[4:5]
	s_mov_b32 s66, s13
	s_mov_b32 s67, s34
	v_mov_b32_e32 v39, v105
	s_mov_b32 s35, s13
	v_pk_mul_f32 v[106:107], v[98:99], s[66:67]
	s_mov_b32 s26, 0x3f65296c
	v_pk_add_f32 v[36:37], v[38:39], v[36:37]
	v_pk_fma_f32 v[38:39], v[32:33], s[34:35], v[106:107] neg_lo:[1,0,0] neg_hi:[1,0,0]
	v_pk_fma_f32 v[110:111], v[32:33], s[34:35], v[106:107]
	s_mov_b32 s58, s25
	s_mov_b32 s59, s26
	;; [unrolled: 9-line block ×3, first 2 shown]
	v_mov_b32_e32 v39, v115
	s_mov_b32 s29, s3
	v_pk_mul_f32 v[90:91], v[94:95], s[62:63]
	v_pk_add_f32 v[36:37], v[38:39], v[36:37]
	v_pk_fma_f32 v[38:39], v[80:81], s[28:29], v[90:91] neg_lo:[1,0,0] neg_hi:[1,0,0]
	v_pk_fma_f32 v[118:119], v[80:81], s[28:29], v[90:91]
	v_pk_mul_f32 v[138:139], v[130:131], s[60:61]
	v_mov_b32_e32 v39, v119
	v_pk_add_f32 v[36:37], v[38:39], v[36:37]
	v_pk_fma_f32 v[38:39], v[2:3], s[24:25], v[138:139] neg_lo:[1,0,0] neg_hi:[1,0,0]
	v_pk_fma_f32 v[134:135], v[2:3], s[24:25], v[138:139]
	v_pk_mul_f32 v[140:141], v[132:133], s[48:49]
	s_mov_b32 s42, 0x3e3c28d5
	v_mov_b32_e32 v39, v135
	v_pk_fma_f32 v[40:41], v[8:9], s[14:15], v[140:141] neg_lo:[1,0,0] neg_hi:[1,0,0]
	v_pk_fma_f32 v[136:137], v[8:9], s[14:15], v[140:141]
	s_mov_b32 s74, s23
	s_mov_b32 s75, s42
	v_mov_b32_e32 v41, v137
	v_pk_add_f32 v[38:39], v[0:1], v[38:39]
	s_mov_b32 s43, s23
	v_pk_mul_f32 v[150:151], v[128:129], s[74:75]
	v_pk_add_f32 v[38:39], v[40:41], v[38:39]
	v_pk_fma_f32 v[40:41], v[14:15], s[42:43], v[150:151] neg_lo:[1,0,0] neg_hi:[1,0,0]
	v_pk_fma_f32 v[142:143], v[14:15], s[42:43], v[150:151]
	v_pk_mul_f32 v[152:153], v[124:125], s[66:67]
	v_mov_b32_e32 v41, v143
	s_mov_b32 s30, 0x3f2c7751
	v_pk_add_f32 v[38:39], v[40:41], v[38:39]
	v_pk_fma_f32 v[40:41], v[20:21], s[34:35], v[152:153] neg_lo:[1,0,0] neg_hi:[1,0,0]
	v_pk_fma_f32 v[144:145], v[20:21], s[34:35], v[152:153]
	s_mov_b32 s64, s17
	s_mov_b32 s65, s30
	v_mov_b32_e32 v41, v145
	s_mov_b32 s31, s17
	v_pk_mul_f32 v[158:159], v[122:123], s[64:65]
	v_pk_add_f32 v[38:39], v[40:41], v[38:39]
	v_pk_fma_f32 v[40:41], v[26:27], s[30:31], v[158:159] neg_lo:[1,0,0] neg_hi:[1,0,0]
	v_pk_fma_f32 v[146:147], v[26:27], s[30:31], v[158:159]
	v_pk_mul_f32 v[84:85], v[98:99], s[46:47]
	v_mov_b32_e32 v41, v147
	v_accvgpr_write_b32 a32, v72
	v_pk_add_f32 v[38:39], v[40:41], v[38:39]
	v_pk_fma_f32 v[40:41], v[32:33], s[2:3], v[84:85] neg_lo:[1,0,0] neg_hi:[1,0,0]
	v_pk_fma_f32 v[148:149], v[32:33], s[2:3], v[84:85]
	v_accvgpr_write_b32 a33, v73
	v_mov_b32_e32 v41, v149
	v_pk_mul_f32 v[72:73], v[96:97], s[52:53]
	v_accvgpr_write_b32 a10, v48
	v_pk_add_f32 v[38:39], v[40:41], v[38:39]
	v_pk_fma_f32 v[40:41], v[74:75], s[18:19], v[72:73] neg_lo:[1,0,0] neg_hi:[1,0,0]
	v_pk_fma_f32 v[154:155], v[74:75], s[18:19], v[72:73]
	v_accvgpr_write_b32 a11, v49
	v_mov_b32_e32 v41, v155
	v_pk_mul_f32 v[48:49], v[94:95], s[50:51]
	v_pk_add_f32 v[38:39], v[40:41], v[38:39]
	v_pk_fma_f32 v[40:41], v[80:81], s[20:21], v[48:49] neg_lo:[1,0,0] neg_hi:[1,0,0]
	v_pk_fma_f32 v[156:157], v[80:81], s[20:21], v[48:49]
	v_pk_mul_f32 v[170:171], v[130:131], s[52:53]
	v_mov_b32_e32 v41, v157
	v_pk_add_f32 v[38:39], v[40:41], v[38:39]
	ds_write2_b64 v11, v[36:37], v[38:39] offset0:2 offset1:3
	v_pk_fma_f32 v[36:37], v[2:3], s[18:19], v[170:171] neg_lo:[1,0,0] neg_hi:[1,0,0]
	v_pk_fma_f32 v[166:167], v[2:3], s[18:19], v[170:171]
	v_pk_mul_f32 v[172:173], v[132:133], s[56:57]
	v_mov_b32_e32 v37, v167
	v_pk_fma_f32 v[38:39], v[8:9], s[22:23], v[172:173] neg_lo:[1,0,0] neg_hi:[1,0,0]
	v_pk_fma_f32 v[168:169], v[8:9], s[22:23], v[172:173]
	v_pk_add_f32 v[36:37], v[0:1], v[36:37]
	v_mov_b32_e32 v39, v169
	v_pk_mul_f32 v[182:183], v[128:129], s[66:67]
	v_pk_add_f32 v[36:37], v[38:39], v[36:37]
	v_pk_fma_f32 v[38:39], v[14:15], s[34:35], v[182:183] neg_lo:[1,0,0] neg_hi:[1,0,0]
	v_pk_fma_f32 v[174:175], v[14:15], s[34:35], v[182:183]
	v_pk_mul_f32 v[184:185], v[124:125], s[62:63]
	v_mov_b32_e32 v39, v175
	v_pk_add_f32 v[36:37], v[38:39], v[36:37]
	v_pk_fma_f32 v[38:39], v[20:21], s[28:29], v[184:185] neg_lo:[1,0,0] neg_hi:[1,0,0]
	v_pk_fma_f32 v[176:177], v[20:21], s[28:29], v[184:185]
	v_pk_mul_f32 v[30:31], v[122:123], s[60:61]
	v_mov_b32_e32 v39, v177
	;; [unrolled: 5-line block ×3, first 2 shown]
	s_mov_b32 s38, 0x3f4c4adb
	v_pk_add_f32 v[36:37], v[38:39], v[36:37]
	v_pk_fma_f32 v[38:39], v[32:33], s[20:21], v[24:25] neg_lo:[1,0,0] neg_hi:[1,0,0]
	v_pk_fma_f32 v[180:181], v[32:33], s[20:21], v[24:25]
	s_mov_b32 s72, s15
	s_mov_b32 s73, s38
	v_mov_b32_e32 v39, v181
	s_mov_b32 s39, s15
	v_pk_mul_f32 v[194:195], v[96:97], s[72:73]
	v_pk_add_f32 v[36:37], v[38:39], v[36:37]
	v_pk_fma_f32 v[38:39], v[74:75], s[38:39], v[194:195] neg_lo:[1,0,0] neg_hi:[1,0,0]
	v_pk_fma_f32 v[186:187], v[74:75], s[38:39], v[194:195]
	v_pk_mul_f32 v[196:197], v[94:95], s[64:65]
	v_mov_b32_e32 v39, v187
	v_pk_add_f32 v[36:37], v[38:39], v[36:37]
	v_pk_fma_f32 v[38:39], v[80:81], s[30:31], v[196:197] neg_lo:[1,0,0] neg_hi:[1,0,0]
	v_pk_fma_f32 v[192:193], v[80:81], s[30:31], v[196:197]
	v_pk_mul_f32 v[202:203], v[130:131], s[44:45]
	v_mov_b32_e32 v39, v193
	;; [unrolled: 5-line block ×3, first 2 shown]
	v_pk_fma_f32 v[38:39], v[8:9], s[36:37], v[204:205] neg_lo:[1,0,0] neg_hi:[1,0,0]
	v_pk_fma_f32 v[200:201], v[8:9], s[36:37], v[204:205]
	v_accvgpr_write_b32 a12, v50
	v_mov_b32_e32 v39, v201
	v_pk_add_f32 v[36:37], v[0:1], v[36:37]
	v_pk_mul_f32 v[18:19], v[128:129], s[64:65]
	v_accvgpr_write_b32 a13, v51
	v_pk_add_f32 v[36:37], v[38:39], v[36:37]
	v_pk_fma_f32 v[38:39], v[14:15], s[30:31], v[18:19] neg_lo:[1,0,0] neg_hi:[1,0,0]
	v_pk_fma_f32 v[50:51], v[14:15], s[30:31], v[18:19]
	v_pk_mul_f32 v[210:211], v[122:123], s[56:57]
	v_mov_b32_e32 v39, v51
	v_pk_add_f32 v[36:37], v[38:39], v[36:37]
	v_pk_mul_f32 v[38:39], v[124:125], s[60:61]
	s_mov_b32 s40, 0x3f7ee86f
	v_pk_fma_f32 v[42:43], v[20:21], s[24:25], v[38:39] neg_lo:[1,0,0] neg_hi:[1,0,0]
	v_pk_fma_f32 v[206:207], v[20:21], s[24:25], v[38:39]
	v_pk_fma_f32 v[208:209], v[26:27], s[22:23], v[210:211]
	v_mov_b32_e32 v43, v207
	v_pk_add_f32 v[36:37], v[42:43], v[36:37]
	v_pk_fma_f32 v[42:43], v[26:27], s[22:23], v[210:211] neg_lo:[1,0,0] neg_hi:[1,0,0]
	s_mov_b32 s70, s19
	s_mov_b32 s71, s40
	v_mov_b32_e32 v43, v209
	s_mov_b32 s41, s19
	v_pk_mul_f32 v[214:215], v[98:99], s[70:71]
	v_pk_add_f32 v[42:43], v[42:43], v[36:37]
	v_pk_fma_f32 v[44:45], v[32:33], s[40:41], v[214:215] neg_lo:[1,0,0] neg_hi:[1,0,0]
	v_pk_fma_f32 v[36:37], v[32:33], s[40:41], v[214:215]
	v_pk_mul_f32 v[218:219], v[96:97], s[46:47]
	v_mov_b32_e32 v45, v37
	v_pk_add_f32 v[42:43], v[44:45], v[42:43]
	v_pk_fma_f32 v[44:45], v[74:75], s[2:3], v[218:219] neg_lo:[1,0,0] neg_hi:[1,0,0]
	v_pk_fma_f32 v[212:213], v[74:75], s[2:3], v[218:219]
	v_pk_mul_f32 v[222:223], v[94:95], s[48:49]
	v_mov_b32_e32 v45, v213
	v_pk_add_f32 v[42:43], v[44:45], v[42:43]
	v_pk_fma_f32 v[44:45], v[80:81], s[14:15], v[222:223] neg_lo:[1,0,0] neg_hi:[1,0,0]
	v_pk_fma_f32 v[216:217], v[80:81], s[14:15], v[222:223]
	v_accvgpr_write_b32 a14, v52
	v_mov_b32_e32 v45, v217
	v_accvgpr_write_b32 a6, v46
	v_pk_add_f32 v[42:43], v[44:45], v[42:43]
	v_pk_mul_f32 v[44:45], v[130:131], s[48:49]
	v_accvgpr_write_b32 a16, v54
	v_accvgpr_write_b32 a15, v53
	;; [unrolled: 1-line block ×3, first 2 shown]
	ds_write2_b64 v11, v[40:41], v[42:43] offset0:4 offset1:5
	v_pk_fma_f32 v[52:53], v[2:3], s[14:15], v[44:45] neg_lo:[1,0,0] neg_hi:[1,0,0]
	v_pk_fma_f32 v[40:41], v[2:3], s[14:15], v[44:45]
	v_pk_mul_f32 v[46:47], v[132:133], s[66:67]
	v_accvgpr_write_b32 a28, v62
	v_accvgpr_write_b32 a17, v55
	v_mov_b32_e32 v53, v41
	v_pk_fma_f32 v[54:55], v[8:9], s[34:35], v[46:47] neg_lo:[1,0,0] neg_hi:[1,0,0]
	v_pk_fma_f32 v[42:43], v[8:9], s[34:35], v[46:47]
	v_accvgpr_write_b32 a29, v63
	v_accvgpr_write_b32 a20, v56
	v_mov_b32_e32 v55, v43
	v_pk_add_f32 v[52:53], v[0:1], v[52:53]
	v_pk_mul_f32 v[62:63], v[128:129], s[46:47]
	v_accvgpr_write_b32 a24, v64
	v_accvgpr_write_b32 a21, v57
	v_pk_add_f32 v[54:55], v[54:55], v[52:53]
	v_pk_fma_f32 v[56:57], v[14:15], s[2:3], v[62:63] neg_lo:[1,0,0] neg_hi:[1,0,0]
	v_pk_fma_f32 v[52:53], v[14:15], s[2:3], v[62:63]
	v_accvgpr_write_b32 a25, v65
	v_accvgpr_write_b32 a18, v58
	v_mov_b32_e32 v57, v53
	v_pk_mul_f32 v[64:65], v[124:125], s[50:51]
	v_accvgpr_write_b32 a19, v59
	v_pk_add_f32 v[56:57], v[56:57], v[54:55]
	v_pk_fma_f32 v[58:59], v[20:21], s[20:21], v[64:65] neg_lo:[1,0,0] neg_hi:[1,0,0]
	v_pk_fma_f32 v[54:55], v[20:21], s[20:21], v[64:65]
	v_accvgpr_write_b32 a22, v60
	v_mov_b32_e32 v220, v68
	v_mov_b32_e32 v59, v55
	v_pk_mul_f32 v[68:69], v[122:123], s[70:71]
	v_accvgpr_write_b32 a26, v70
	v_accvgpr_write_b32 a23, v61
	v_pk_add_f32 v[58:59], v[58:59], v[56:57]
	v_pk_fma_f32 v[60:61], v[26:27], s[40:41], v[68:69] neg_lo:[1,0,0] neg_hi:[1,0,0]
	v_pk_fma_f32 v[56:57], v[26:27], s[40:41], v[68:69]
	v_accvgpr_write_b32 a30, v66
	v_accvgpr_write_b32 a27, v71
	v_mov_b32_e32 v61, v57
	v_pk_mul_f32 v[70:71], v[98:99], s[54:55]
	v_accvgpr_write_b32 a31, v67
	v_pk_add_f32 v[60:61], v[60:61], v[58:59]
	v_pk_fma_f32 v[66:67], v[32:33], s[16:17], v[70:71] neg_lo:[1,0,0] neg_hi:[1,0,0]
	v_pk_fma_f32 v[58:59], v[32:33], s[16:17], v[70:71]
	v_pk_mul_f32 v[226:227], v[96:97], s[56:57]
	v_mov_b32_e32 v67, v59
	v_pk_add_f32 v[66:67], v[66:67], v[60:61]
	v_pk_fma_f32 v[228:229], v[74:75], s[22:23], v[226:227] neg_lo:[1,0,0] neg_hi:[1,0,0]
	v_pk_fma_f32 v[60:61], v[74:75], s[22:23], v[226:227]
	v_pk_mul_f32 v[230:231], v[94:95], s[58:59]
	v_mov_b32_e32 v229, v61
	;; [unrolled: 5-line block ×3, first 2 shown]
	v_pk_add_f32 v[228:229], v[232:233], v[228:229]
	v_pk_mul_f32 v[232:233], v[130:131], s[50:51]
	v_pk_fma_f32 v[240:241], v[8:9], s[26:27], v[238:239] neg_lo:[1,0,0] neg_hi:[1,0,0]
	v_pk_fma_f32 v[234:235], v[2:3], s[20:21], v[232:233] neg_lo:[1,0,0] neg_hi:[1,0,0]
	v_pk_fma_f32 v[236:237], v[2:3], s[20:21], v[232:233]
	v_pk_fma_f32 v[242:243], v[8:9], s[26:27], v[238:239]
	v_mov_b32_e32 v235, v237
	v_mov_b32_e32 v241, v243
	v_pk_add_f32 v[234:235], v[0:1], v[234:235]
	v_accvgpr_write_b32 a61, v5
	v_pk_add_f32 v[234:235], v[240:241], v[234:235]
	v_pk_mul_f32 v[240:241], v[128:129], s[52:53]
	v_accvgpr_write_b32 a60, v4
	v_pk_fma_f32 v[244:245], v[14:15], s[18:19], v[240:241] neg_lo:[1,0,0] neg_hi:[1,0,0]
	v_pk_fma_f32 v[246:247], v[14:15], s[18:19], v[240:241]
	v_pk_mul_f32 v[132:133], v[132:133], s[62:63]
	v_mov_b32_e32 v245, v247
	v_pk_add_f32 v[234:235], v[244:245], v[234:235]
	v_pk_mul_f32 v[244:245], v[124:125], s[72:73]
	v_pk_fma_f32 v[120:121], v[8:9], s[28:29], v[132:133]
	v_pk_fma_f32 v[248:249], v[20:21], s[38:39], v[244:245] neg_lo:[1,0,0] neg_hi:[1,0,0]
	v_pk_fma_f32 v[250:251], v[20:21], s[38:39], v[244:245]
	v_pk_mul_f32 v[128:129], v[128:129], s[50:51]
	v_mov_b32_e32 v249, v251
	v_pk_add_f32 v[234:235], v[248:249], v[234:235]
	v_pk_mul_f32 v[248:249], v[122:123], s[46:47]
	v_pk_fma_f32 v[126:127], v[14:15], s[20:21], v[128:129]
	;; [unrolled: 7-line block ×5, first 2 shown]
	v_pk_fma_f32 v[112:113], v[80:81], s[12:13], v[78:79] neg_lo:[1,0,0] neg_hi:[1,0,0]
	v_pk_fma_f32 v[116:117], v[80:81], s[12:13], v[78:79]
	v_pk_mul_f32 v[96:97], v[96:97], s[44:45]
	v_mov_b32_e32 v113, v117
	v_pk_add_f32 v[4:5], v[112:113], v[4:5]
	ds_write2_b64 v11, v[228:229], v[4:5] offset0:6 offset1:7
	v_pk_mul_f32 v[4:5], v[130:131], s[56:57]
	v_pk_fma_f32 v[228:229], v[8:9], s[28:29], v[132:133] neg_lo:[1,0,0] neg_hi:[1,0,0]
	v_pk_fma_f32 v[112:113], v[2:3], s[22:23], v[4:5] neg_lo:[1,0,0] neg_hi:[1,0,0]
	v_pk_fma_f32 v[130:131], v[2:3], s[22:23], v[4:5]
	v_mov_b32_e32 v229, v121
	v_mov_b32_e32 v113, v131
	v_pk_add_f32 v[112:113], v[0:1], v[112:113]
	v_pk_fma_f32 v[4:5], v[2:3], s[22:23], v[4:5] neg_lo:[0,0,1] neg_hi:[0,0,1]
	v_pk_add_f32 v[112:113], v[228:229], v[112:113]
	v_pk_fma_f32 v[228:229], v[14:15], s[20:21], v[128:129] neg_lo:[1,0,0] neg_hi:[1,0,0]
	v_mov_b32_e32 v131, v5
	v_mov_b32_e32 v229, v127
	v_pk_add_f32 v[112:113], v[228:229], v[112:113]
	v_pk_fma_f32 v[228:229], v[20:21], s[30:31], v[124:125] neg_lo:[1,0,0] neg_hi:[1,0,0]
	v_pk_fma_f32 v[4:5], v[8:9], s[28:29], v[132:133] neg_lo:[0,0,1] neg_hi:[0,0,1]
	v_mov_b32_e32 v229, v161
	v_pk_add_f32 v[112:113], v[228:229], v[112:113]
	v_pk_fma_f32 v[228:229], v[26:27], s[14:15], v[122:123] neg_lo:[1,0,0] neg_hi:[1,0,0]
	v_mov_b32_e32 v121, v5
	v_mov_b32_e32 v229, v163
	v_pk_fma_f32 v[4:5], v[14:15], s[20:21], v[128:129] neg_lo:[0,0,1] neg_hi:[0,0,1]
	v_pk_add_f32 v[112:113], v[228:229], v[112:113]
	v_pk_fma_f32 v[228:229], v[32:33], s[26:27], v[98:99] neg_lo:[1,0,0] neg_hi:[1,0,0]
	v_mov_b32_e32 v127, v5
	v_pk_fma_f32 v[4:5], v[20:21], s[30:31], v[124:125] neg_lo:[0,0,1] neg_hi:[0,0,1]
	v_mov_b32_e32 v229, v165
	v_mov_b32_e32 v161, v5
	v_pk_fma_f32 v[4:5], v[26:27], s[14:15], v[122:123] neg_lo:[0,0,1] neg_hi:[0,0,1]
	v_pk_add_f32 v[112:113], v[228:229], v[112:113]
	v_pk_fma_f32 v[228:229], v[74:75], s[12:13], v[96:97] neg_lo:[1,0,0] neg_hi:[1,0,0]
	v_pk_fma_f32 v[188:189], v[74:75], s[12:13], v[96:97]
	v_mov_b32_e32 v163, v5
	v_pk_fma_f32 v[4:5], v[32:33], s[26:27], v[98:99] neg_lo:[0,0,1] neg_hi:[0,0,1]
	v_mov_b32_e32 v229, v189
	v_pk_mul_f32 v[94:95], v[94:95], s[70:71]
	v_mov_b32_e32 v165, v5
	v_pk_fma_f32 v[4:5], v[74:75], s[12:13], v[96:97] neg_lo:[0,0,1] neg_hi:[0,0,1]
	v_pk_add_f32 v[112:113], v[228:229], v[112:113]
	v_pk_fma_f32 v[228:229], v[80:81], s[40:41], v[94:95] neg_lo:[1,0,0] neg_hi:[1,0,0]
	v_pk_fma_f32 v[190:191], v[80:81], s[40:41], v[94:95]
	v_mov_b32_e32 v189, v5
	v_pk_fma_f32 v[4:5], v[80:81], s[40:41], v[94:95] neg_lo:[0,0,1] neg_hi:[0,0,1]
	v_mov_b32_e32 v229, v191
	v_mov_b32_e32 v191, v5
	v_pk_add_f32 v[4:5], v[0:1], v[130:131]
	v_pk_add_f32 v[112:113], v[228:229], v[112:113]
	;; [unrolled: 1-line block ×3, first 2 shown]
	v_pk_fma_f32 v[44:45], v[2:3], s[14:15], v[44:45] neg_lo:[0,0,1] neg_hi:[0,0,1]
	v_pk_add_f32 v[4:5], v[126:127], v[4:5]
	v_mov_b32_e32 v41, v45
	v_pk_add_f32 v[4:5], v[160:161], v[4:5]
	v_pk_fma_f32 v[44:45], v[8:9], s[34:35], v[46:47] neg_lo:[0,0,1] neg_hi:[0,0,1]
	v_pk_add_f32 v[4:5], v[162:163], v[4:5]
	v_mov_b32_e32 v43, v45
	v_pk_add_f32 v[4:5], v[164:165], v[4:5]
	v_pk_fma_f32 v[44:45], v[14:15], s[2:3], v[62:63] neg_lo:[0,0,1] neg_hi:[0,0,1]
	v_pk_add_f32 v[4:5], v[188:189], v[4:5]
	v_pk_add_f32 v[40:41], v[0:1], v[40:41]
	;; [unrolled: 1-line block ×3, first 2 shown]
	ds_write2_b64 v11, v[112:113], v[4:5] offset0:8 offset1:9
	v_pk_fma_f32 v[4:5], v[2:3], s[20:21], v[232:233] neg_lo:[0,0,1] neg_hi:[0,0,1]
	v_mov_b32_e32 v53, v45
	v_mov_b32_e32 v237, v5
	v_pk_fma_f32 v[4:5], v[8:9], s[26:27], v[238:239] neg_lo:[0,0,1] neg_hi:[0,0,1]
	v_pk_fma_f32 v[44:45], v[20:21], s[20:21], v[64:65] neg_lo:[0,0,1] neg_hi:[0,0,1]
	v_mov_b32_e32 v243, v5
	v_pk_fma_f32 v[4:5], v[14:15], s[18:19], v[240:241] neg_lo:[0,0,1] neg_hi:[0,0,1]
	v_pk_add_f32 v[40:41], v[42:43], v[40:41]
	v_mov_b32_e32 v247, v5
	v_pk_fma_f32 v[4:5], v[20:21], s[38:39], v[244:245] neg_lo:[0,0,1] neg_hi:[0,0,1]
	v_mov_b32_e32 v55, v45
	v_mov_b32_e32 v251, v5
	v_pk_fma_f32 v[4:5], v[26:27], s[2:3], v[248:249] neg_lo:[0,0,1] neg_hi:[0,0,1]
	v_pk_fma_f32 v[44:45], v[26:27], s[40:41], v[68:69] neg_lo:[0,0,1] neg_hi:[0,0,1]
	v_mov_b32_e32 v255, v5
	v_pk_fma_f32 v[4:5], v[32:33], s[22:23], v[252:253] neg_lo:[0,0,1] neg_hi:[0,0,1]
	v_pk_add_f32 v[40:41], v[52:53], v[40:41]
	v_mov_b32_e32 v77, v5
	v_pk_fma_f32 v[4:5], v[74:75], s[30:31], v[234:235] neg_lo:[0,0,1] neg_hi:[0,0,1]
	v_mov_b32_e32 v57, v45
	v_mov_b32_e32 v109, v5
	v_pk_fma_f32 v[4:5], v[80:81], s[12:13], v[78:79] neg_lo:[0,0,1] neg_hi:[0,0,1]
	v_pk_fma_f32 v[44:45], v[32:33], s[16:17], v[70:71] neg_lo:[0,0,1] neg_hi:[0,0,1]
	v_mov_b32_e32 v117, v5
	v_pk_add_f32 v[4:5], v[0:1], v[236:237]
	v_pk_add_f32 v[40:41], v[54:55], v[40:41]
	;; [unrolled: 1-line block ×3, first 2 shown]
	v_mov_b32_e32 v59, v45
	v_pk_add_f32 v[4:5], v[246:247], v[4:5]
	v_pk_fma_f32 v[44:45], v[74:75], s[22:23], v[226:227] neg_lo:[0,0,1] neg_hi:[0,0,1]
	v_pk_add_f32 v[4:5], v[250:251], v[4:5]
	v_pk_add_f32 v[40:41], v[56:57], v[40:41]
	;; [unrolled: 1-line block ×3, first 2 shown]
	v_mov_b32_e32 v61, v45
	v_pk_add_f32 v[4:5], v[76:77], v[4:5]
	v_pk_fma_f32 v[44:45], v[80:81], s[26:27], v[230:231] neg_lo:[0,0,1] neg_hi:[0,0,1]
	v_pk_add_f32 v[40:41], v[58:59], v[40:41]
	v_pk_add_f32 v[4:5], v[108:109], v[4:5]
	v_mov_b32_e32 v67, v45
	v_pk_add_f32 v[40:41], v[60:61], v[40:41]
	v_pk_add_f32 v[4:5], v[116:117], v[4:5]
	;; [unrolled: 1-line block ×3, first 2 shown]
	ds_write2_b64 v11, v[4:5], v[40:41] offset0:10 offset1:11
	v_pk_fma_f32 v[4:5], v[2:3], s[12:13], v[202:203] neg_lo:[0,0,1] neg_hi:[0,0,1]
	v_accvgpr_write_b32 a9, v220
	v_mov_b32_e32 v199, v5
	v_pk_fma_f32 v[4:5], v[8:9], s[36:37], v[204:205] neg_lo:[0,0,1] neg_hi:[0,0,1]
	s_load_dwordx2 s[0:1], s[0:1], 0x38
	v_mov_b32_e32 v201, v5
	v_pk_fma_f32 v[4:5], v[14:15], s[30:31], v[18:19] neg_lo:[0,0,1] neg_hi:[0,0,1]
	v_pk_fma_f32 v[18:19], v[2:3], s[18:19], v[170:171] neg_lo:[0,0,1] neg_hi:[0,0,1]
	v_mov_b32_e32 v51, v5
	v_mov_b32_e32 v167, v19
	v_pk_fma_f32 v[18:19], v[8:9], s[22:23], v[172:173] neg_lo:[0,0,1] neg_hi:[0,0,1]
	v_pk_fma_f32 v[4:5], v[20:21], s[24:25], v[38:39] neg_lo:[0,0,1] neg_hi:[0,0,1]
	v_mov_b32_e32 v169, v19
	v_pk_fma_f32 v[18:19], v[14:15], s[34:35], v[182:183] neg_lo:[0,0,1] neg_hi:[0,0,1]
	v_mov_b32_e32 v207, v5
	v_mov_b32_e32 v175, v19
	v_pk_fma_f32 v[18:19], v[20:21], s[28:29], v[184:185] neg_lo:[0,0,1] neg_hi:[0,0,1]
	v_pk_fma_f32 v[4:5], v[26:27], s[22:23], v[210:211] neg_lo:[0,0,1] neg_hi:[0,0,1]
	v_mov_b32_e32 v177, v19
	v_pk_fma_f32 v[18:19], v[26:27], s[24:25], v[30:31] neg_lo:[0,0,1] neg_hi:[0,0,1]
	v_mov_b32_e32 v209, v5
	;; [unrolled: 2-line block ×8, first 2 shown]
	v_pk_add_f32 v[4:5], v[0:1], v[198:199]
	v_mov_b32_e32 v193, v19
	v_pk_add_f32 v[18:19], v[0:1], v[166:167]
	v_pk_add_f32 v[4:5], v[200:201], v[4:5]
	;; [unrolled: 1-line block ×15, first 2 shown]
	ds_write2_b64 v11, v[4:5], v[18:19] offset0:12 offset1:13
	v_accvgpr_read_b32 v18, a52
	v_accvgpr_read_b32 v19, a53
	v_pk_fma_f32 v[18:19], v[2:3], s[16:17], v[18:19] neg_lo:[0,0,1] neg_hi:[0,0,1]
	v_pk_fma_f32 v[4:5], v[2:3], s[24:25], v[138:139] neg_lo:[0,0,1] neg_hi:[0,0,1]
	v_mov_b32_e32 v87, v19
	v_accvgpr_read_b32 v18, a54
	v_accvgpr_read_b32 v19, a55
	v_pk_fma_f32 v[18:19], v[8:9], s[18:19], v[18:19] neg_lo:[0,0,1] neg_hi:[0,0,1]
	v_mov_b32_e32 v135, v5
	v_mov_b32_e32 v89, v19
	v_accvgpr_read_b32 v18, a56
	v_accvgpr_read_b32 v19, a57
	v_pk_fma_f32 v[18:19], v[14:15], s[14:15], v[18:19] neg_lo:[0,0,1] neg_hi:[0,0,1]
	v_pk_fma_f32 v[4:5], v[8:9], s[14:15], v[140:141] neg_lo:[0,0,1] neg_hi:[0,0,1]
	v_mov_b32_e32 v7, v19
	v_accvgpr_read_b32 v18, a58
	v_accvgpr_read_b32 v19, a59
	v_pk_fma_f32 v[18:19], v[20:21], s[22:23], v[18:19] neg_lo:[0,0,1] neg_hi:[0,0,1]
	v_mov_b32_e32 v137, v5
	v_pk_fma_f32 v[4:5], v[14:15], s[42:43], v[150:151] neg_lo:[0,0,1] neg_hi:[0,0,1]
	v_mov_b32_e32 v103, v19
	v_accvgpr_read_b32 v18, a60
	v_mov_b32_e32 v143, v5
	v_pk_fma_f32 v[4:5], v[20:21], s[34:35], v[152:153] neg_lo:[0,0,1] neg_hi:[0,0,1]
	v_accvgpr_read_b32 v19, a61
	v_mov_b32_e32 v145, v5
	v_pk_fma_f32 v[4:5], v[26:27], s[30:31], v[158:159] neg_lo:[0,0,1] neg_hi:[0,0,1]
	v_pk_fma_f32 v[18:19], v[26:27], s[36:37], v[18:19] neg_lo:[0,0,1] neg_hi:[0,0,1]
	v_mov_b32_e32 v147, v5
	v_pk_fma_f32 v[4:5], v[32:33], s[2:3], v[84:85] neg_lo:[0,0,1] neg_hi:[0,0,1]
	v_mov_b32_e32 v105, v19
	;; [unrolled: 2-line block ×7, first 2 shown]
	v_pk_add_f32 v[4:5], v[0:1], v[134:135]
	v_mov_b32_e32 v119, v19
	v_pk_add_f32 v[18:19], v[0:1], v[86:87]
	v_pk_add_f32 v[4:5], v[136:137], v[4:5]
	;; [unrolled: 1-line block ×15, first 2 shown]
	ds_write2_b64 v11, v[4:5], v[18:19] offset0:14 offset1:15
	v_accvgpr_read_b32 v4, a36
	v_accvgpr_read_b32 v5, a37
	v_pk_fma_f32 v[2:3], v[2:3], s[2:3], v[4:5] neg_lo:[0,0,1] neg_hi:[0,0,1]
	v_mov_b32_e32 v6, v11
	v_mov_b32_e32 v225, v3
	v_accvgpr_read_b32 v2, a38
	v_accvgpr_read_b32 v3, a39
	v_pk_fma_f32 v[2:3], v[8:9], s[16:17], v[2:3] neg_lo:[0,0,1] neg_hi:[0,0,1]
	v_pk_add_f32 v[0:1], v[0:1], v[224:225]
	v_mov_b32_e32 v13, v3
	v_accvgpr_read_b32 v2, a40
	v_accvgpr_read_b32 v3, a41
	v_pk_fma_f32 v[2:3], v[14:15], s[24:25], v[2:3] neg_lo:[0,0,1] neg_hi:[0,0,1]
	v_pk_add_f32 v[0:1], v[12:13], v[0:1]
	;; [unrolled: 5-line block ×7, first 2 shown]
	v_mov_b32_e32 v83, v3
	v_pk_add_f32 v[0:1], v[82:83], v[0:1]
	ds_write_b64 v6, v[0:1] offset:128
	v_lshlrev_b32_e32 v0, 7, v220
	v_accvgpr_write_b32 a39, v6
	s_waitcnt lgkmcnt(0)
	s_barrier
	global_load_dwordx4 v[6:9], v0, s[10:11] offset:48
	global_load_dwordx4 v[18:21], v0, s[10:11] offset:64
	;; [unrolled: 1-line block ×5, first 2 shown]
	global_load_dwordx4 v[250:253], v0, s[10:11]
	global_load_dwordx4 v[246:249], v0, s[10:11] offset:16
	global_load_dwordx4 v[240:243], v0, s[10:11] offset:32
	ds_read2_b64 v[0:3], v100 offset0:136 offset1:153
	ds_read2_b64 v[32:35], v100 offset0:170 offset1:187
	;; [unrolled: 1-line block ×4, first 2 shown]
	s_mov_b32 s10, s25
	s_waitcnt vmcnt(7)
	v_mov_b32_e32 v26, v9
	s_waitcnt lgkmcnt(3)
	v_pk_mul_f32 v[4:5], v[0:1], v[26:27] op_sel_hi:[1,0]
	v_accvgpr_write_b32 a64, v8
	v_pk_fma_f32 v[36:37], v[0:1], v[8:9], v[4:5] op_sel:[0,0,1] op_sel_hi:[1,1,0] neg_lo:[0,0,1] neg_hi:[0,0,1]
	v_pk_fma_f32 v[4:5], v[0:1], v[8:9], v[4:5] op_sel:[0,0,1] op_sel_hi:[1,0,0]
	s_waitcnt vmcnt(6)
	v_pk_mul_f32 v[0:1], v[2:3], v[18:19] op_sel:[0,1]
	s_waitcnt vmcnt(4)
	v_accvgpr_write_b32 a42, v12
	v_pk_fma_f32 v[38:39], v[2:3], v[18:19], v[0:1] op_sel:[0,0,1] op_sel_hi:[1,1,0] neg_lo:[0,0,1] neg_hi:[0,0,1]
	v_pk_fma_f32 v[2:3], v[2:3], v[18:19], v[0:1] op_sel:[0,0,1] op_sel_hi:[1,0,0]
	v_accvgpr_write_b32 a41, v11
	v_mov_b32_e32 v2, v21
	s_waitcnt lgkmcnt(2)
	v_pk_mul_f32 v[0:1], v[32:33], v[2:3] op_sel_hi:[1,0]
	v_mov_b32_e32 v2, v17
	v_pk_fma_f32 v[52:53], v[32:33], v[20:21], v[0:1] op_sel:[0,0,1] op_sel_hi:[1,0,0] neg_lo:[0,0,1] neg_hi:[0,0,1]
	v_pk_fma_f32 v[54:55], v[32:33], v[20:21], v[0:1] op_sel:[0,0,1] op_sel_hi:[1,0,0]
	v_pk_mul_f32 v[0:1], v[34:35], v[14:15] op_sel:[0,1]
	s_waitcnt lgkmcnt(1)
	v_pk_mul_f32 v[32:33], v[46:47], v[10:11] op_sel:[0,1]
	v_pk_fma_f32 v[56:57], v[34:35], v[14:15], v[0:1] op_sel:[0,0,1] op_sel_hi:[1,0,0] neg_lo:[0,0,1] neg_hi:[0,0,1]
	v_pk_fma_f32 v[58:59], v[34:35], v[14:15], v[0:1] op_sel:[0,0,1] op_sel_hi:[1,0,0]
	v_pk_mul_f32 v[0:1], v[44:45], v[2:3] op_sel_hi:[1,0]
	v_mov_b32_e32 v2, v13
	v_pk_fma_f32 v[42:43], v[44:45], v[16:17], v[0:1] op_sel:[0,0,1] op_sel_hi:[1,0,0] neg_lo:[0,0,1] neg_hi:[0,0,1]
	v_pk_fma_f32 v[40:41], v[44:45], v[16:17], v[0:1] op_sel:[0,0,1] op_sel_hi:[1,0,0]
	v_pk_fma_f32 v[0:1], v[46:47], v[10:11], v[32:33] op_sel:[0,0,1] op_sel_hi:[1,0,0] neg_lo:[0,0,1] neg_hi:[0,0,1]
	v_pk_fma_f32 v[60:61], v[46:47], v[10:11], v[32:33] op_sel:[0,0,1] op_sel_hi:[1,0,0]
	s_waitcnt lgkmcnt(0)
	v_pk_mul_f32 v[32:33], v[48:49], v[2:3] op_sel_hi:[1,0]
	s_waitcnt vmcnt(3)
	v_pk_mul_f32 v[44:45], v[50:51], v[22:23] op_sel:[0,1]
	v_pk_fma_f32 v[62:63], v[48:49], v[12:13], v[32:33] op_sel:[0,0,1] op_sel_hi:[1,0,0] neg_lo:[0,0,1] neg_hi:[0,0,1]
	v_pk_fma_f32 v[64:65], v[48:49], v[12:13], v[32:33] op_sel:[0,0,1] op_sel_hi:[1,0,0]
	ds_read2_b64 v[32:35], v100 offset1:17
	v_pk_fma_f32 v[66:67], v[50:51], v[22:23], v[44:45] op_sel:[0,0,1] op_sel_hi:[1,0,0] neg_lo:[0,0,1] neg_hi:[0,0,1]
	v_pk_fma_f32 v[68:69], v[50:51], v[22:23], v[44:45] op_sel:[0,0,1] op_sel_hi:[1,0,0]
	ds_read2_b64 v[44:47], v100 offset0:34 offset1:51
	s_waitcnt vmcnt(2)
	v_mov_b32_e32 v2, v251
	s_waitcnt lgkmcnt(1)
	v_pk_mul_f32 v[48:49], v[34:35], v[2:3]
	v_mov_b32_e32 v2, v35
	v_pk_fma_f32 v[70:71], v[2:3], v[250:251], v[48:49]
	v_mov_b32_e32 v2, v253
	s_waitcnt lgkmcnt(0)
	v_pk_mul_f32 v[48:49], v[44:45], v[2:3]
	v_mov_b32_e32 v2, v45
	v_pk_fma_f32 v[72:73], v[2:3], v[252:253], v[48:49]
	v_pk_mul_f32 v[44:45], v[44:45], v[252:253]
	s_waitcnt vmcnt(1)
	v_pk_mul_f32 v[48:49], v[46:47], v[246:247]
	v_mov_b32_e32 v50, v44
	v_mov_b32_e32 v51, v48
	;; [unrolled: 1-line block ×3, first 2 shown]
	v_pk_add_f32 v[88:89], v[50:51], v[48:49] neg_lo:[0,1] neg_hi:[0,1]
	ds_read2_b64 v[48:51], v100 offset0:68 offset1:85
	v_mov_b32_e32 v2, v247
	v_pk_mul_f32 v[44:45], v[46:47], v[2:3]
	v_mov_b32_e32 v2, v47
	v_pk_fma_f32 v[90:91], v[2:3], v[246:247], v[44:45]
	v_mov_b32_e32 v2, v249
	s_waitcnt lgkmcnt(0)
	v_pk_mul_f32 v[44:45], v[48:49], v[2:3]
	v_mov_b32_e32 v2, v49
	v_pk_fma_f32 v[92:93], v[2:3], v[248:249], v[44:45]
	v_pk_mul_f32 v[44:45], v[48:49], v[248:249]
	s_waitcnt vmcnt(0)
	v_pk_mul_f32 v[46:47], v[50:51], v[240:241]
	v_mov_b32_e32 v48, v44
	v_mov_b32_e32 v49, v46
	;; [unrolled: 1-line block ×3, first 2 shown]
	v_pk_add_f32 v[48:49], v[48:49], v[46:47] neg_lo:[0,1] neg_hi:[0,1]
	ds_read2_b64 v[44:47], v100 offset0:102 offset1:119
	v_mov_b32_e32 v2, v241
	v_pk_mul_f32 v[82:83], v[50:51], v[2:3]
	v_mov_b32_e32 v2, v51
	v_pk_fma_f32 v[50:51], v[2:3], v[240:241], v[82:83]
	v_mov_b32_e32 v2, v243
	s_waitcnt lgkmcnt(0)
	v_pk_mul_f32 v[82:83], v[44:45], v[2:3]
	v_mov_b32_e32 v2, v45
	v_pk_fma_f32 v[84:85], v[2:3], v[242:243], v[82:83]
	v_pk_mul_f32 v[82:83], v[44:45], v[242:243]
	v_accvgpr_write_b32 a40, v10
	v_mov_b32_e32 v2, v83
	v_pk_mul_f32 v[82:83], v[46:47], v[6:7]
	v_pk_fma_f32 v[44:45], v[44:45], v[242:243], v[2:3] neg_lo:[0,0,1] neg_hi:[0,0,1]
	v_mov_b32_e32 v2, v83
	v_pk_fma_f32 v[86:87], v[46:47], v[6:7], v[2:3] neg_lo:[0,0,1] neg_hi:[0,0,1]
	v_mov_b32_e32 v2, v7
	v_pk_mul_f32 v[82:83], v[46:47], v[2:3]
	v_mov_b32_e32 v2, v47
	ds_read_b64 v[46:47], v100 offset:2176
	v_pk_fma_f32 v[94:95], v[2:3], v[6:7], v[82:83]
	v_mov_b32_e32 v4, v25
	v_mov_b32_e32 v11, v84
	;; [unrolled: 1-line block ×3, first 2 shown]
	s_waitcnt lgkmcnt(0)
	v_pk_mul_f32 v[2:3], v[46:47], v[4:5] op_sel_hi:[1,0]
	v_pk_add_f32 v[82:83], v[10:11], v[58:59]
	v_mov_b32_e32 v58, v59
	v_mov_b32_e32 v11, v94
	;; [unrolled: 1-line block ×3, first 2 shown]
	v_pk_fma_f32 v[4:5], v[46:47], v[24:25], v[2:3] op_sel:[0,0,1] op_sel_hi:[1,0,0] neg_lo:[0,0,1] neg_hi:[0,0,1]
	v_pk_fma_f32 v[2:3], v[46:47], v[24:25], v[2:3] op_sel:[0,0,1] op_sel_hi:[1,0,0]
	v_mov_b32_e32 v46, v56
	v_pk_add_f32 v[136:137], v[44:45], v[56:57]
	v_pk_add_f32 v[56:57], v[44:45], v[56:57] neg_lo:[0,1] neg_hi:[0,1]
	v_mov_b32_e32 v45, v84
	v_pk_add_f32 v[144:145], v[84:85], v[58:59] neg_lo:[0,1] neg_hi:[0,1]
	v_pk_add_f32 v[84:85], v[10:11], v[54:55]
	v_mov_b32_e32 v54, v55
	v_mov_b32_e32 v47, v59
	;; [unrolled: 1-line block ×3, first 2 shown]
	v_pk_add_f32 v[150:151], v[94:95], v[54:55] neg_lo:[0,1] neg_hi:[0,1]
	v_pk_mul_f32 v[54:55], v[34:35], v[250:251]
	v_mov_b32_e32 v11, v72
	v_mov_b32_e32 v54, v55
	v_pk_fma_f32 v[54:55], v[34:35], v[250:251], v[54:55] neg_lo:[0,0,1] neg_hi:[0,0,1]
	v_mov_b32_e32 v34, v69
	v_pk_add_f32 v[178:179], v[72:73], v[34:35] neg_lo:[0,1] neg_hi:[0,1]
	v_mov_b32_e32 v34, v33
	v_pk_add_f32 v[34:35], v[34:35], v[70:71]
	v_mov_b32_e32 v97, v94
	v_pk_add_f32 v[94:95], v[34:35], v[72:73]
	v_pk_add_f32 v[34:35], v[10:11], v[68:69]
	v_mov_b32_e32 v11, v70
	v_mov_b32_e32 v58, v52
	v_pk_add_f32 v[142:143], v[86:87], v[52:53]
	v_pk_add_f32 v[52:53], v[86:87], v[52:53] neg_lo:[0,1] neg_hi:[0,1]
	v_mov_b32_e32 v96, v86
	v_pk_add_f32 v[86:87], v[10:11], v[2:3]
	v_mov_b32_e32 v2, v4
	v_pk_add_f32 v[196:197], v[54:55], v[4:5]
	v_pk_add_f32 v[4:5], v[54:55], v[4:5] neg_lo:[0,1] neg_hi:[0,1]
	v_mov_b32_e32 v34, v3
	v_mov_b32_e32 v5, v62
	v_pk_add_f32 v[54:55], v[32:33], v[54:55]
	v_pk_add_f32 v[192:193], v[70:71], v[34:35] neg_lo:[0,1] neg_hi:[0,1]
	v_pk_add_f32 v[70:71], v[88:89], v[4:5] neg_lo:[0,1] neg_hi:[0,1]
	v_pk_add_f32 v[54:55], v[54:55], v[88:89]
	v_mov_b32_e32 v34, v89
	v_mov_b32_e32 v5, v90
	;; [unrolled: 1-line block ×3, first 2 shown]
	v_pk_add_f32 v[194:195], v[88:89], v[66:67]
	v_pk_add_f32 v[66:67], v[88:89], v[66:67] neg_lo:[0,1] neg_hi:[0,1]
	v_pk_add_f32 v[54:55], v[54:55], v[34:35]
	v_pk_add_f32 v[172:173], v[34:35], v[62:63]
	;; [unrolled: 1-line block ×3, first 2 shown]
	v_mov_b32_e32 v34, v65
	v_mov_b32_e32 v5, v92
	;; [unrolled: 1-line block ×3, first 2 shown]
	v_pk_add_f32 v[176:177], v[90:91], v[34:35] neg_lo:[0,1] neg_hi:[0,1]
	v_pk_add_f32 v[64:65], v[94:95], v[90:91]
	v_pk_add_f32 v[90:91], v[4:5], v[60:61]
	v_mov_b32_e32 v60, v0
	v_pk_add_f32 v[182:183], v[48:49], v[0:1]
	v_pk_add_f32 v[0:1], v[48:49], v[0:1] neg_lo:[0,1] neg_hi:[0,1]
	v_mov_b32_e32 v34, v61
	v_mov_b32_e32 v1, v42
	v_pk_add_f32 v[174:175], v[92:93], v[34:35] neg_lo:[0,1] neg_hi:[0,1]
	v_pk_add_f32 v[64:65], v[64:65], v[92:93]
	v_pk_add_f32 v[72:73], v[48:49], v[0:1] neg_lo:[0,1] neg_hi:[0,1]
	v_pk_add_f32 v[54:55], v[54:55], v[48:49]
	v_mov_b32_e32 v34, v49
	v_mov_b32_e32 v1, v50
	v_pk_add_f32 v[48:49], v[54:55], v[34:35]
	v_pk_add_f32 v[184:185], v[34:35], v[42:43]
	v_mov_b32_e32 v43, v41
	v_pk_add_f32 v[92:93], v[0:1], v[40:41]
	v_mov_b32_e32 v34, v41
	v_pk_add_f32 v[40:41], v[64:65], v[50:51]
	v_pk_add_f32 v[180:181], v[36:37], v[38:39]
	v_mov_b32_e32 v49, v40
	v_pk_add_f32 v[40:41], v[48:49], v[44:45]
	v_mov_b32_e32 v197, v4
	v_pk_add_f32 v[40:41], v[40:41], v[96:97]
	v_accvgpr_write_b32 a63, v7
	v_pk_add_f32 v[40:41], v[40:41], v[36:37]
	v_pk_add_f32 v[36:37], v[36:37], v[38:39] neg_lo:[0,1] neg_hi:[0,1]
	v_pk_add_f32 v[38:39], v[40:41], v[38:39]
	v_accvgpr_write_b32 a62, v6
	v_pk_add_f32 v[38:39], v[38:39], v[58:59]
	v_pk_mul_f32 v[6:7], v[196:197], s[46:47]
	v_pk_add_f32 v[38:39], v[38:39], v[46:47]
	v_mov_b32_e32 v195, v66
	v_pk_add_f32 v[38:39], v[38:39], v[42:43]
	v_mov_b32_e32 v86, v192
	v_pk_add_f32 v[38:39], v[38:39], v[60:61]
	v_accvgpr_write_b32 a67, v7
	v_pk_add_f32 v[38:39], v[38:39], v[62:63]
	v_pk_fma_f32 v[4:5], v[192:193], s[2:3], v[6:7] neg_lo:[1,0,0] neg_hi:[1,0,0]
	v_pk_fma_f32 v[94:95], v[86:87], s[2:3], v[6:7]
	v_accvgpr_write_b32 a66, v6
	v_pk_mul_f32 v[6:7], v[194:195], s[54:55]
	v_pk_add_f32 v[186:187], v[50:51], v[34:35] neg_lo:[0,1] neg_hi:[0,1]
	v_pk_add_f32 v[38:39], v[38:39], v[68:69]
	v_mov_b32_e32 v34, v178
	v_accvgpr_write_b32 a69, v7
	v_mov_b32_e32 v173, v71
	v_pk_add_f32 v[2:3], v[38:39], v[2:3]
	v_mov_b32_e32 v5, v95
	v_pk_fma_f32 v[38:39], v[178:179], s[16:17], v[6:7] neg_lo:[1,0,0] neg_hi:[1,0,0]
	v_pk_fma_f32 v[98:99], v[34:35], s[16:17], v[6:7]
	v_accvgpr_write_b32 a68, v6
	v_pk_mul_f32 v[6:7], v[172:173], s[60:61]
	v_pk_add_f32 v[4:5], v[32:33], v[4:5]
	v_mov_b32_e32 v39, v99
	v_mov_b32_e32 v88, v176
	v_accvgpr_write_b32 a71, v7
	v_mov_b32_e32 v183, v0
	v_pk_add_f32 v[4:5], v[38:39], v[4:5]
	v_pk_fma_f32 v[38:39], v[176:177], s[24:25], v[6:7] neg_lo:[1,0,0] neg_hi:[1,0,0]
	v_pk_fma_f32 v[102:103], v[88:89], s[24:25], v[6:7]
	v_accvgpr_write_b32 a70, v6
	v_mov_b32_e32 v90, v174
	v_pk_mul_f32 v[6:7], v[182:183], s[52:53]
	v_mov_b32_e32 v39, v103
	v_pk_fma_f32 v[0:1], v[174:175], s[18:19], v[6:7] neg_lo:[1,0,0] neg_hi:[1,0,0]
	v_pk_fma_f32 v[106:107], v[90:91], s[18:19], v[6:7]
	v_accvgpr_write_b32 a73, v7
	v_mov_b32_e32 v185, v73
	v_pk_add_f32 v[4:5], v[38:39], v[4:5]
	v_accvgpr_write_b32 a72, v6
	v_mov_b32_e32 v1, v107
	v_mov_b32_e32 v92, v186
	v_pk_mul_f32 v[6:7], v[184:185], s[44:45]
	v_pk_add_f32 v[0:1], v[0:1], v[4:5]
	v_pk_fma_f32 v[4:5], v[186:187], s[12:13], v[6:7] neg_lo:[1,0,0] neg_hi:[1,0,0]
	v_pk_fma_f32 v[110:111], v[92:93], s[12:13], v[6:7]
	v_accvgpr_write_b32 a75, v7
	v_mov_b32_e32 v137, v56
	v_accvgpr_write_b32 a74, v6
	v_mov_b32_e32 v5, v111
	v_mov_b32_e32 v82, v144
	v_pk_mul_f32 v[6:7], v[136:137], s[48:49]
	v_pk_add_f32 v[0:1], v[4:5], v[0:1]
	v_pk_fma_f32 v[4:5], v[144:145], s[14:15], v[6:7] neg_lo:[1,0,0] neg_hi:[1,0,0]
	v_pk_fma_f32 v[114:115], v[82:83], s[14:15], v[6:7]
	v_accvgpr_write_b32 a77, v7
	v_mov_b32_e32 v143, v52
	;; [unrolled: 9-line block ×3, first 2 shown]
	v_mov_b32_e32 v181, v36
	v_accvgpr_write_b32 a78, v6
	v_mov_b32_e32 v5, v119
	v_mov_b32_e32 v122, v37
	v_pk_mul_f32 v[6:7], v[180:181], s[56:57]
	v_pk_add_f32 v[0:1], v[4:5], v[0:1]
	v_pk_fma_f32 v[4:5], v[122:123], s[22:23], v[6:7] neg_lo:[1,0,0] neg_hi:[1,0,0]
	v_pk_fma_f32 v[124:125], v[122:123], s[22:23], v[6:7]
	v_accvgpr_write_b32 a81, v7
	v_mov_b32_e32 v5, v125
	v_pk_add_f32 v[0:1], v[4:5], v[0:1]
	ds_write2_b64 v100, v[2:3], v[0:1] offset1:17
	v_pk_mul_f32 v[2:3], v[196:197], s[54:55]
	v_pk_mul_f32 v[4:5], v[194:195], s[52:53]
	v_pk_fma_f32 v[0:1], v[192:193], s[16:17], v[2:3] neg_lo:[1,0,0] neg_hi:[1,0,0]
	v_pk_fma_f32 v[128:129], v[86:87], s[16:17], v[2:3]
	v_accvgpr_write_b32 a83, v3
	v_accvgpr_write_b32 a82, v2
	v_mov_b32_e32 v1, v129
	v_pk_fma_f32 v[2:3], v[178:179], s[18:19], v[4:5] neg_lo:[1,0,0] neg_hi:[1,0,0]
	v_pk_fma_f32 v[130:131], v[34:35], s[18:19], v[4:5]
	v_accvgpr_write_b32 a85, v5
	v_accvgpr_write_b32 a84, v4
	v_mov_b32_e32 v3, v131
	v_pk_add_f32 v[0:1], v[32:33], v[0:1]
	v_pk_mul_f32 v[4:5], v[172:173], s[48:49]
	v_pk_add_f32 v[0:1], v[2:3], v[0:1]
	v_pk_fma_f32 v[2:3], v[176:177], s[14:15], v[4:5] neg_lo:[1,0,0] neg_hi:[1,0,0]
	v_pk_fma_f32 v[138:139], v[88:89], s[14:15], v[4:5]
	v_accvgpr_write_b32 a87, v5
	v_accvgpr_write_b32 a86, v4
	v_mov_b32_e32 v3, v139
	v_pk_mul_f32 v[4:5], v[182:183], s[56:57]
	v_pk_add_f32 v[0:1], v[2:3], v[0:1]
	v_pk_fma_f32 v[2:3], v[174:175], s[22:23], v[4:5] neg_lo:[1,0,0] neg_hi:[1,0,0]
	v_pk_fma_f32 v[140:141], v[90:91], s[22:23], v[4:5]
	v_accvgpr_write_b32 a89, v5
	v_accvgpr_write_b32 a88, v4
	v_mov_b32_e32 v3, v141
	;; [unrolled: 7-line block ×6, first 2 shown]
	v_pk_mul_f32 v[4:5], v[196:197], s[60:61]
	v_accvgpr_write_b32 a80, v6
	v_pk_add_f32 v[0:1], v[2:3], v[0:1]
	v_pk_fma_f32 v[2:3], v[192:193], s[24:25], v[4:5] neg_lo:[1,0,0] neg_hi:[1,0,0]
	v_pk_fma_f32 v[168:169], v[86:87], s[24:25], v[4:5]
	v_accvgpr_write_b32 a99, v5
	v_pk_mul_f32 v[6:7], v[194:195], s[48:49]
	v_accvgpr_write_b32 a98, v4
	v_mov_b32_e32 v3, v169
	v_pk_fma_f32 v[4:5], v[178:179], s[14:15], v[6:7] neg_lo:[1,0,0] neg_hi:[1,0,0]
	v_pk_fma_f32 v[170:171], v[34:35], s[14:15], v[6:7]
	v_pk_mul_f32 v[190:191], v[172:173], s[74:75]
	v_mov_b32_e32 v5, v171
	v_pk_add_f32 v[2:3], v[32:33], v[2:3]
	v_pk_fma_f32 v[36:37], v[176:177], s[42:43], v[190:191] neg_lo:[1,0,0] neg_hi:[1,0,0]
	v_pk_fma_f32 v[198:199], v[88:89], s[42:43], v[190:191]
	v_pk_add_f32 v[2:3], v[4:5], v[2:3]
	v_mov_b32_e32 v37, v199
	v_pk_mul_f32 v[208:209], v[182:183], s[66:67]
	v_pk_add_f32 v[2:3], v[36:37], v[2:3]
	v_pk_fma_f32 v[36:37], v[174:175], s[34:35], v[208:209] neg_lo:[1,0,0] neg_hi:[1,0,0]
	v_pk_fma_f32 v[200:201], v[90:91], s[34:35], v[208:209]
	v_pk_mul_f32 v[188:189], v[184:185], s[64:65]
	v_mov_b32_e32 v37, v201
	v_pk_add_f32 v[2:3], v[36:37], v[2:3]
	v_pk_fma_f32 v[36:37], v[186:187], s[30:31], v[188:189] neg_lo:[1,0,0] neg_hi:[1,0,0]
	v_pk_fma_f32 v[202:203], v[92:93], s[30:31], v[188:189]
	v_pk_mul_f32 v[216:217], v[136:137], s[46:47]
	v_mov_b32_e32 v37, v203
	v_pk_add_f32 v[2:3], v[36:37], v[2:3]
	v_pk_fma_f32 v[36:37], v[144:145], s[2:3], v[216:217] neg_lo:[1,0,0] neg_hi:[1,0,0]
	v_pk_fma_f32 v[204:205], v[82:83], s[2:3], v[216:217]
	v_pk_mul_f32 v[166:167], v[142:143], s[52:53]
	v_mov_b32_e32 v37, v205
	v_pk_add_f32 v[2:3], v[36:37], v[2:3]
	v_pk_fma_f32 v[36:37], v[150:151], s[18:19], v[166:167] neg_lo:[1,0,0] neg_hi:[1,0,0]
	v_pk_fma_f32 v[206:207], v[84:85], s[18:19], v[166:167]
	v_pk_mul_f32 v[164:165], v[180:181], s[50:51]
	v_mov_b32_e32 v37, v207
	v_pk_add_f32 v[2:3], v[36:37], v[2:3]
	v_pk_fma_f32 v[36:37], v[122:123], s[20:21], v[164:165] neg_lo:[1,0,0] neg_hi:[1,0,0]
	v_pk_fma_f32 v[212:213], v[122:123], s[20:21], v[164:165]
	v_pk_mul_f32 v[226:227], v[196:197], s[52:53]
	v_mov_b32_e32 v37, v213
	v_pk_add_f32 v[2:3], v[36:37], v[2:3]
	ds_write2_b64 v100, v[0:1], v[2:3] offset0:34 offset1:51
	v_pk_fma_f32 v[0:1], v[192:193], s[18:19], v[226:227] neg_lo:[1,0,0] neg_hi:[1,0,0]
	v_pk_fma_f32 v[222:223], v[86:87], s[18:19], v[226:227]
	v_pk_mul_f32 v[228:229], v[194:195], s[56:57]
	v_mov_b32_e32 v1, v223
	v_pk_fma_f32 v[2:3], v[178:179], s[22:23], v[228:229] neg_lo:[1,0,0] neg_hi:[1,0,0]
	v_pk_fma_f32 v[224:225], v[34:35], s[22:23], v[228:229]
	v_pk_add_f32 v[0:1], v[32:33], v[0:1]
	v_mov_b32_e32 v3, v225
	v_pk_mul_f32 v[162:163], v[172:173], s[66:67]
	v_pk_add_f32 v[0:1], v[2:3], v[0:1]
	v_pk_fma_f32 v[2:3], v[176:177], s[34:35], v[162:163] neg_lo:[1,0,0] neg_hi:[1,0,0]
	v_pk_fma_f32 v[230:231], v[88:89], s[34:35], v[162:163]
	v_pk_mul_f32 v[160:161], v[182:183], s[62:63]
	v_mov_b32_e32 v3, v231
	v_pk_add_f32 v[0:1], v[2:3], v[0:1]
	v_pk_fma_f32 v[2:3], v[174:175], s[28:29], v[160:161] neg_lo:[1,0,0] neg_hi:[1,0,0]
	v_pk_fma_f32 v[232:233], v[90:91], s[28:29], v[160:161]
	v_pk_mul_f32 v[156:157], v[184:185], s[60:61]
	v_mov_b32_e32 v3, v233
	;; [unrolled: 5-line block ×7, first 2 shown]
	v_pk_fma_f32 v[40:41], v[178:179], s[36:37], v[120:121] neg_lo:[1,0,0] neg_hi:[1,0,0]
	v_pk_fma_f32 v[50:51], v[34:35], s[36:37], v[120:121]
	v_pk_add_f32 v[2:3], v[32:33], v[2:3]
	v_mov_b32_e32 v41, v51
	v_pk_mul_f32 v[116:117], v[172:173], s[64:65]
	v_pk_add_f32 v[2:3], v[40:41], v[2:3]
	v_pk_fma_f32 v[42:43], v[176:177], s[30:31], v[116:117] neg_lo:[1,0,0] neg_hi:[1,0,0]
	v_pk_fma_f32 v[40:41], v[88:89], s[30:31], v[116:117]
	v_pk_mul_f32 v[112:113], v[182:183], s[60:61]
	v_mov_b32_e32 v43, v41
	v_pk_add_f32 v[2:3], v[42:43], v[2:3]
	v_pk_fma_f32 v[44:45], v[174:175], s[24:25], v[112:113] neg_lo:[1,0,0] neg_hi:[1,0,0]
	v_pk_fma_f32 v[42:43], v[90:91], s[24:25], v[112:113]
	v_pk_mul_f32 v[108:109], v[184:185], s[56:57]
	v_mov_b32_e32 v45, v43
	v_pk_add_f32 v[2:3], v[44:45], v[2:3]
	v_pk_fma_f32 v[46:47], v[186:187], s[22:23], v[108:109] neg_lo:[1,0,0] neg_hi:[1,0,0]
	v_pk_fma_f32 v[44:45], v[92:93], s[22:23], v[108:109]
	v_pk_mul_f32 v[104:105], v[136:137], s[70:71]
	v_mov_b32_e32 v47, v45
	v_pk_add_f32 v[2:3], v[46:47], v[2:3]
	v_pk_fma_f32 v[48:49], v[144:145], s[40:41], v[104:105] neg_lo:[1,0,0] neg_hi:[1,0,0]
	v_pk_fma_f32 v[46:47], v[82:83], s[40:41], v[104:105]
	v_pk_mul_f32 v[96:97], v[142:143], s[46:47]
	v_mov_b32_e32 v49, v47
	v_pk_add_f32 v[2:3], v[48:49], v[2:3]
	v_pk_fma_f32 v[56:57], v[150:151], s[2:3], v[96:97] neg_lo:[1,0,0] neg_hi:[1,0,0]
	v_pk_fma_f32 v[48:49], v[84:85], s[2:3], v[96:97]
	v_pk_mul_f32 v[76:77], v[180:181], s[48:49]
	v_mov_b32_e32 v57, v49
	v_pk_add_f32 v[2:3], v[56:57], v[2:3]
	v_pk_fma_f32 v[66:67], v[122:123], s[14:15], v[76:77] neg_lo:[1,0,0] neg_hi:[1,0,0]
	v_pk_fma_f32 v[56:57], v[122:123], s[14:15], v[76:77]
	v_pk_mul_f32 v[74:75], v[196:197], s[48:49]
	v_mov_b32_e32 v67, v57
	v_pk_add_f32 v[2:3], v[66:67], v[2:3]
	ds_write2_b64 v100, v[0:1], v[2:3] offset0:68 offset1:85
	v_pk_fma_f32 v[0:1], v[192:193], s[14:15], v[74:75] neg_lo:[1,0,0] neg_hi:[1,0,0]
	v_pk_fma_f32 v[66:67], v[86:87], s[14:15], v[74:75]
	v_pk_mul_f32 v[72:73], v[194:195], s[66:67]
	v_mov_b32_e32 v1, v67
	v_pk_fma_f32 v[2:3], v[178:179], s[34:35], v[72:73] neg_lo:[1,0,0] neg_hi:[1,0,0]
	v_pk_fma_f32 v[68:69], v[34:35], s[34:35], v[72:73]
	v_pk_add_f32 v[0:1], v[32:33], v[0:1]
	v_mov_b32_e32 v3, v69
	v_pk_mul_f32 v[70:71], v[172:173], s[46:47]
	v_pk_add_f32 v[0:1], v[2:3], v[0:1]
	v_pk_fma_f32 v[2:3], v[176:177], s[2:3], v[70:71] neg_lo:[1,0,0] neg_hi:[1,0,0]
	v_pk_fma_f32 v[210:211], v[88:89], s[2:3], v[70:71]
	v_pk_mul_f32 v[214:215], v[182:183], s[50:51]
	v_mov_b32_e32 v3, v211
	v_accvgpr_write_b32 a38, v24
	v_pk_add_f32 v[2:3], v[2:3], v[0:1]
	v_pk_fma_f32 v[0:1], v[174:175], s[20:21], v[214:215] neg_lo:[1,0,0] neg_hi:[1,0,0]
	v_pk_fma_f32 v[218:219], v[90:91], s[20:21], v[214:215]
	v_pk_mul_f32 v[64:65], v[184:185], s[70:71]
	v_accvgpr_write_b32 a60, v25
	v_accvgpr_write_b32 a37, v23
	;; [unrolled: 1-line block ×3, first 2 shown]
	v_mov_b32_e32 v1, v219
	v_pk_fma_f32 v[220:221], v[186:187], s[40:41], v[64:65] neg_lo:[1,0,0] neg_hi:[1,0,0]
	v_pk_fma_f32 v[24:25], v[92:93], s[40:41], v[64:65]
	v_pk_add_f32 v[0:1], v[0:1], v[2:3]
	v_mov_b32_e32 v221, v25
	v_accvgpr_write_b32 a54, v20
	v_pk_add_f32 v[2:3], v[220:221], v[0:1]
	v_pk_mul_f32 v[220:221], v[136:137], s[54:55]
	v_accvgpr_write_b32 a56, v21
	v_accvgpr_write_b32 a53, v19
	;; [unrolled: 1-line block ×3, first 2 shown]
	v_pk_fma_f32 v[0:1], v[144:145], s[16:17], v[220:221] neg_lo:[1,0,0] neg_hi:[1,0,0]
	v_pk_fma_f32 v[20:21], v[82:83], s[16:17], v[220:221]
	v_pk_mul_f32 v[62:63], v[142:143], s[56:57]
	v_mov_b32_e32 v1, v21
	v_pk_add_f32 v[2:3], v[0:1], v[2:3]
	v_pk_fma_f32 v[0:1], v[150:151], s[22:23], v[62:63] neg_lo:[1,0,0] neg_hi:[1,0,0]
	v_pk_fma_f32 v[18:19], v[84:85], s[22:23], v[62:63]
	v_accvgpr_write_b32 a48, v16
	v_mov_b32_e32 v1, v19
	v_pk_mul_f32 v[60:61], v[180:181], s[58:59]
	v_accvgpr_write_b32 a50, v17
	v_accvgpr_write_b32 a47, v15
	;; [unrolled: 1-line block ×3, first 2 shown]
	v_pk_add_f32 v[2:3], v[0:1], v[2:3]
	v_pk_fma_f32 v[0:1], v[122:123], s[26:27], v[60:61] neg_lo:[1,0,0] neg_hi:[1,0,0]
	v_pk_fma_f32 v[16:17], v[122:123], s[26:27], v[60:61]
	v_pk_mul_f32 v[58:59], v[196:197], s[50:51]
	v_mov_b32_e32 v1, v17
	v_pk_add_f32 v[52:53], v[0:1], v[2:3]
	v_pk_fma_f32 v[0:1], v[192:193], s[20:21], v[58:59] neg_lo:[1,0,0] neg_hi:[1,0,0]
	v_pk_fma_f32 v[22:23], v[86:87], s[20:21], v[58:59]
	v_pk_mul_f32 v[54:55], v[194:195], s[58:59]
	v_mov_b32_e32 v1, v23
	v_pk_fma_f32 v[30:31], v[178:179], s[26:27], v[54:55] neg_lo:[1,0,0] neg_hi:[1,0,0]
	v_pk_fma_f32 v[14:15], v[34:35], s[26:27], v[54:55]
	v_pk_add_f32 v[0:1], v[32:33], v[0:1]
	v_mov_b32_e32 v31, v15
	v_pk_mul_f32 v[38:39], v[172:173], s[52:53]
	v_accvgpr_write_b32 a44, v13
	v_pk_add_f32 v[0:1], v[30:31], v[0:1]
	v_pk_fma_f32 v[30:31], v[176:177], s[18:19], v[38:39] neg_lo:[1,0,0] neg_hi:[1,0,0]
	v_pk_fma_f32 v[12:13], v[88:89], s[18:19], v[38:39]
	v_pk_mul_f32 v[36:37], v[182:183], s[72:73]
	v_mov_b32_e32 v31, v13
	v_pk_add_f32 v[2:3], v[30:31], v[0:1]
	v_pk_fma_f32 v[0:1], v[174:175], s[38:39], v[36:37] neg_lo:[1,0,0] neg_hi:[1,0,0]
	v_pk_fma_f32 v[10:11], v[90:91], s[38:39], v[36:37]
	v_pk_mul_f32 v[30:31], v[184:185], s[46:47]
	v_accvgpr_write_b32 a58, v9
	v_mov_b32_e32 v1, v11
	v_pk_fma_f32 v[80:81], v[186:187], s[2:3], v[30:31] neg_lo:[1,0,0] neg_hi:[1,0,0]
	v_pk_fma_f32 v[8:9], v[92:93], s[2:3], v[30:31]
	v_pk_add_f32 v[0:1], v[0:1], v[2:3]
	v_mov_b32_e32 v81, v9
	v_accvgpr_write_b32 a101, v7
	v_pk_add_f32 v[2:3], v[80:81], v[0:1]
	v_pk_mul_f32 v[80:81], v[136:137], s[56:57]
	v_accvgpr_write_b32 a100, v6
	v_pk_fma_f32 v[0:1], v[144:145], s[22:23], v[80:81] neg_lo:[1,0,0] neg_hi:[1,0,0]
	v_pk_fma_f32 v[6:7], v[82:83], s[22:23], v[80:81]
	v_pk_mul_f32 v[28:29], v[142:143], s[64:65]
	v_mov_b32_e32 v1, v7
	v_pk_add_f32 v[2:3], v[0:1], v[2:3]
	v_pk_fma_f32 v[0:1], v[150:151], s[30:31], v[28:29] neg_lo:[1,0,0] neg_hi:[1,0,0]
	v_pk_fma_f32 v[4:5], v[84:85], s[30:31], v[28:29]
	v_pk_mul_f32 v[26:27], v[180:181], s[44:45]
	v_mov_b32_e32 v1, v5
	v_pk_add_f32 v[0:1], v[0:1], v[2:3]
	;; [unrolled: 5-line block ×3, first 2 shown]
	ds_write2_b64 v100, v[52:53], v[0:1] offset0:102 offset1:119
	v_pk_mul_f32 v[0:1], v[196:197], s[56:57]
	v_pk_fma_f32 v[176:177], v[176:177], s[20:21], v[172:173] neg_lo:[1,0,0] neg_hi:[1,0,0]
	v_pk_fma_f32 v[52:53], v[192:193], s[22:23], v[0:1] neg_lo:[1,0,0] neg_hi:[1,0,0]
	v_pk_fma_f32 v[78:79], v[86:87], s[22:23], v[0:1]
	v_pk_mul_f32 v[192:193], v[194:195], s[62:63]
	v_mov_b32_e32 v53, v79
	v_pk_fma_f32 v[178:179], v[178:179], s[28:29], v[192:193] neg_lo:[1,0,0] neg_hi:[1,0,0]
	v_pk_fma_f32 v[194:195], v[34:35], s[28:29], v[192:193]
	v_pk_add_f32 v[52:53], v[32:33], v[52:53]
	v_mov_b32_e32 v179, v195
	v_pk_add_f32 v[52:53], v[178:179], v[52:53]
	v_pk_fma_f32 v[178:179], v[88:89], s[20:21], v[172:173]
	v_pk_fma_f32 v[0:1], v[86:87], s[22:23], v[0:1] neg_lo:[0,0,1] neg_hi:[0,0,1]
	v_mov_b32_e32 v177, v179
	v_pk_add_f32 v[52:53], v[176:177], v[52:53]
	v_pk_mul_f32 v[176:177], v[182:183], s[64:65]
	v_pk_mul_f32 v[136:137], v[136:137], s[58:59]
	v_pk_fma_f32 v[174:175], v[174:175], s[30:31], v[176:177] neg_lo:[1,0,0] neg_hi:[1,0,0]
	v_pk_fma_f32 v[182:183], v[90:91], s[30:31], v[176:177]
	v_mov_b32_e32 v79, v1
	v_mov_b32_e32 v175, v183
	v_pk_add_f32 v[52:53], v[174:175], v[52:53]
	v_pk_mul_f32 v[174:175], v[184:185], s[48:49]
	v_pk_fma_f32 v[0:1], v[34:35], s[28:29], v[192:193] neg_lo:[0,0,1] neg_hi:[0,0,1]
	v_pk_fma_f32 v[184:185], v[186:187], s[14:15], v[174:175] neg_lo:[1,0,0] neg_hi:[1,0,0]
	v_pk_fma_f32 v[186:187], v[92:93], s[14:15], v[174:175]
	v_pk_fma_f32 v[144:145], v[144:145], s[26:27], v[136:137] neg_lo:[1,0,0] neg_hi:[1,0,0]
	v_mov_b32_e32 v185, v187
	v_pk_add_f32 v[52:53], v[184:185], v[52:53]
	v_pk_fma_f32 v[184:185], v[82:83], s[26:27], v[136:137]
	v_mov_b32_e32 v195, v1
	v_pk_fma_f32 v[0:1], v[88:89], s[20:21], v[172:173] neg_lo:[0,0,1] neg_hi:[0,0,1]
	v_mov_b32_e32 v145, v185
	v_pk_mul_f32 v[142:143], v[142:143], s[44:45]
	v_mov_b32_e32 v179, v1
	v_pk_fma_f32 v[0:1], v[90:91], s[30:31], v[176:177] neg_lo:[0,0,1] neg_hi:[0,0,1]
	v_pk_add_f32 v[52:53], v[144:145], v[52:53]
	v_pk_fma_f32 v[144:145], v[150:151], s[12:13], v[142:143] neg_lo:[1,0,0] neg_hi:[1,0,0]
	v_pk_fma_f32 v[150:151], v[84:85], s[12:13], v[142:143]
	v_mov_b32_e32 v183, v1
	v_pk_fma_f32 v[0:1], v[92:93], s[14:15], v[174:175] neg_lo:[0,0,1] neg_hi:[0,0,1]
	v_mov_b32_e32 v145, v151
	v_mov_b32_e32 v187, v1
	v_pk_fma_f32 v[0:1], v[82:83], s[26:27], v[136:137] neg_lo:[0,0,1] neg_hi:[0,0,1]
	v_pk_add_f32 v[52:53], v[144:145], v[52:53]
	v_pk_mul_f32 v[144:145], v[180:181], s[70:71]
	v_mov_b32_e32 v185, v1
	v_pk_fma_f32 v[0:1], v[84:85], s[12:13], v[142:143] neg_lo:[0,0,1] neg_hi:[0,0,1]
	v_pk_fma_f32 v[180:181], v[122:123], s[40:41], v[144:145] neg_lo:[1,0,0] neg_hi:[1,0,0]
	v_pk_fma_f32 v[196:197], v[122:123], s[40:41], v[144:145]
	v_mov_b32_e32 v151, v1
	v_pk_fma_f32 v[0:1], v[122:123], s[40:41], v[144:145] neg_lo:[0,0,1] neg_hi:[0,0,1]
	v_mov_b32_e32 v181, v197
	v_mov_b32_e32 v197, v1
	v_pk_add_f32 v[0:1], v[32:33], v[78:79]
	v_pk_add_f32 v[52:53], v[180:181], v[52:53]
	;; [unrolled: 1-line block ×3, first 2 shown]
	s_mov_b32 s48, s3
	v_pk_add_f32 v[0:1], v[178:179], v[0:1]
	s_mov_b32 s44, s17
	v_pk_add_f32 v[0:1], v[182:183], v[0:1]
	s_mov_b32 s46, s13
	v_pk_add_f32 v[0:1], v[186:187], v[0:1]
	s_mov_b32 s50, s15
	v_pk_add_f32 v[0:1], v[184:185], v[0:1]
	s_mov_b32 s52, s21
	v_pk_add_f32 v[0:1], v[150:151], v[0:1]
	s_mov_b32 s54, s23
	v_pk_add_f32 v[0:1], v[196:197], v[0:1]
	ds_write2_b64 v100, v[52:53], v[0:1] offset0:136 offset1:153
	v_pk_fma_f32 v[0:1], v[86:87], s[20:21], v[58:59] neg_lo:[0,0,1] neg_hi:[0,0,1]
	s_nop 0
	v_mov_b32_e32 v23, v1
	v_pk_fma_f32 v[0:1], v[34:35], s[26:27], v[54:55] neg_lo:[0,0,1] neg_hi:[0,0,1]
	s_nop 0
	v_mov_b32_e32 v15, v1
	;; [unrolled: 3-line block ×8, first 2 shown]
	v_pk_add_f32 v[0:1], v[32:33], v[22:23]
	s_nop 0
	v_pk_add_f32 v[0:1], v[14:15], v[0:1]
	s_nop 0
	v_pk_add_f32 v[0:1], v[12:13], v[0:1]
	s_nop 0
	v_pk_add_f32 v[0:1], v[10:11], v[0:1]
	s_nop 0
	v_pk_add_f32 v[0:1], v[8:9], v[0:1]
	s_nop 0
	v_pk_add_f32 v[0:1], v[6:7], v[0:1]
	s_nop 0
	v_pk_add_f32 v[0:1], v[4:5], v[0:1]
	s_nop 0
	v_pk_add_f32 v[0:1], v[2:3], v[0:1]
	v_pk_fma_f32 v[2:3], v[86:87], s[14:15], v[74:75] neg_lo:[0,0,1] neg_hi:[0,0,1]
	s_nop 0
	v_mov_b32_e32 v67, v3
	v_pk_fma_f32 v[2:3], v[34:35], s[34:35], v[72:73] neg_lo:[0,0,1] neg_hi:[0,0,1]
	s_nop 0
	v_mov_b32_e32 v69, v3
	;; [unrolled: 3-line block ×8, first 2 shown]
	v_pk_add_f32 v[2:3], v[32:33], v[66:67]
	s_nop 0
	v_pk_add_f32 v[2:3], v[68:69], v[2:3]
	s_nop 0
	;; [unrolled: 2-line block ×7, first 2 shown]
	v_pk_add_f32 v[2:3], v[16:17], v[2:3]
	ds_write2_b64 v100, v[0:1], v[2:3] offset0:170 offset1:187
	v_pk_fma_f32 v[0:1], v[86:87], s[12:13], v[126:127] neg_lo:[0,0,1] neg_hi:[0,0,1]
	v_pk_fma_f32 v[2:3], v[86:87], s[18:19], v[226:227] neg_lo:[0,0,1] neg_hi:[0,0,1]
	v_mov_b32_e32 v255, v1
	v_pk_fma_f32 v[0:1], v[34:35], s[36:37], v[120:121] neg_lo:[0,0,1] neg_hi:[0,0,1]
	v_mov_b32_e32 v223, v3
	;; [unrolled: 2-line block ×15, first 2 shown]
	v_pk_add_f32 v[0:1], v[32:33], v[254:255]
	v_mov_b32_e32 v245, v3
	v_pk_add_f32 v[2:3], v[32:33], v[222:223]
	v_pk_add_f32 v[0:1], v[50:51], v[0:1]
	;; [unrolled: 1-line block ×15, first 2 shown]
	ds_write2_b64 v100, v[0:1], v[2:3] offset0:204 offset1:221
	v_accvgpr_read_b32 v2, a82
	v_accvgpr_read_b32 v3, a83
	v_pk_fma_f32 v[2:3], v[86:87], s[16:17], v[2:3] neg_lo:[0,0,1] neg_hi:[0,0,1]
	v_accvgpr_read_b32 v0, a98
	v_mov_b32_e32 v129, v3
	v_accvgpr_read_b32 v2, a84
	v_accvgpr_read_b32 v3, a85
	v_pk_fma_f32 v[2:3], v[34:35], s[18:19], v[2:3] neg_lo:[0,0,1] neg_hi:[0,0,1]
	v_accvgpr_read_b32 v1, a99
	v_mov_b32_e32 v131, v3
	v_accvgpr_read_b32 v2, a86
	v_accvgpr_read_b32 v3, a87
	v_pk_fma_f32 v[2:3], v[88:89], s[14:15], v[2:3] neg_lo:[0,0,1] neg_hi:[0,0,1]
	v_pk_fma_f32 v[0:1], v[86:87], s[24:25], v[0:1] neg_lo:[0,0,1] neg_hi:[0,0,1]
	v_mov_b32_e32 v139, v3
	v_accvgpr_read_b32 v2, a88
	v_accvgpr_read_b32 v3, a89
	v_pk_fma_f32 v[2:3], v[90:91], s[22:23], v[2:3] neg_lo:[0,0,1] neg_hi:[0,0,1]
	v_mov_b32_e32 v169, v1
	v_mov_b32_e32 v141, v3
	v_accvgpr_read_b32 v2, a90
	v_accvgpr_read_b32 v3, a91
	v_pk_fma_f32 v[2:3], v[92:93], s[36:37], v[2:3] neg_lo:[0,0,1] neg_hi:[0,0,1]
	v_accvgpr_read_b32 v0, a100
	v_mov_b32_e32 v147, v3
	v_accvgpr_read_b32 v2, a92
	v_accvgpr_read_b32 v1, a101
	v_accvgpr_read_b32 v3, a93
	v_pk_fma_f32 v[0:1], v[34:35], s[14:15], v[0:1] neg_lo:[0,0,1] neg_hi:[0,0,1]
	v_pk_fma_f32 v[2:3], v[82:83], s[34:35], v[2:3] neg_lo:[0,0,1] neg_hi:[0,0,1]
	v_mov_b32_e32 v171, v1
	v_pk_fma_f32 v[0:1], v[88:89], s[42:43], v[190:191] neg_lo:[0,0,1] neg_hi:[0,0,1]
	v_mov_b32_e32 v149, v3
	v_accvgpr_read_b32 v2, a94
	v_mov_b32_e32 v199, v1
	v_pk_fma_f32 v[0:1], v[90:91], s[34:35], v[208:209] neg_lo:[0,0,1] neg_hi:[0,0,1]
	v_accvgpr_read_b32 v3, a95
	v_mov_b32_e32 v201, v1
	v_pk_fma_f32 v[0:1], v[92:93], s[30:31], v[188:189] neg_lo:[0,0,1] neg_hi:[0,0,1]
	v_pk_fma_f32 v[2:3], v[84:85], s[26:27], v[2:3] neg_lo:[0,0,1] neg_hi:[0,0,1]
	v_mov_b32_e32 v203, v1
	v_pk_fma_f32 v[0:1], v[82:83], s[2:3], v[216:217] neg_lo:[0,0,1] neg_hi:[0,0,1]
	v_mov_b32_e32 v153, v3
	v_accvgpr_read_b32 v2, a96
	v_mov_b32_e32 v205, v1
	v_pk_fma_f32 v[0:1], v[84:85], s[18:19], v[166:167] neg_lo:[0,0,1] neg_hi:[0,0,1]
	v_accvgpr_read_b32 v3, a97
	v_mov_b32_e32 v207, v1
	v_pk_fma_f32 v[0:1], v[122:123], s[20:21], v[164:165] neg_lo:[0,0,1] neg_hi:[0,0,1]
	v_pk_fma_f32 v[2:3], v[122:123], s[28:29], v[2:3] neg_lo:[0,0,1] neg_hi:[0,0,1]
	v_mov_b32_e32 v213, v1
	v_pk_add_f32 v[0:1], v[32:33], v[168:169]
	v_mov_b32_e32 v159, v3
	v_pk_add_f32 v[2:3], v[32:33], v[128:129]
	v_pk_add_f32 v[0:1], v[170:171], v[0:1]
	;; [unrolled: 1-line block ×15, first 2 shown]
	ds_write2_b64 v100, v[0:1], v[2:3] offset0:238 offset1:255
	v_accvgpr_read_b32 v2, a68
	v_accvgpr_read_b32 v3, a69
	v_pk_fma_f32 v[2:3], v[34:35], s[16:17], v[2:3] neg_lo:[0,0,1] neg_hi:[0,0,1]
	v_accvgpr_read_b32 v0, a66
	v_mov_b32_e32 v99, v3
	v_accvgpr_read_b32 v2, a70
	v_accvgpr_read_b32 v3, a71
	v_pk_fma_f32 v[2:3], v[88:89], s[24:25], v[2:3] neg_lo:[0,0,1] neg_hi:[0,0,1]
	v_accvgpr_read_b32 v1, a67
	v_mov_b32_e32 v103, v3
	v_accvgpr_read_b32 v2, a72
	v_accvgpr_read_b32 v3, a73
	v_pk_fma_f32 v[2:3], v[90:91], s[18:19], v[2:3] neg_lo:[0,0,1] neg_hi:[0,0,1]
	v_pk_fma_f32 v[0:1], v[86:87], s[2:3], v[0:1] neg_lo:[0,0,1] neg_hi:[0,0,1]
	v_mov_b32_e32 v107, v3
	v_accvgpr_read_b32 v2, a74
	v_accvgpr_read_b32 v3, a75
	v_pk_fma_f32 v[2:3], v[92:93], s[12:13], v[2:3] neg_lo:[0,0,1] neg_hi:[0,0,1]
	v_mov_b32_e32 v95, v1
	v_mov_b32_e32 v111, v3
	v_accvgpr_read_b32 v2, a76
	v_accvgpr_read_b32 v3, a77
	v_pk_fma_f32 v[2:3], v[82:83], s[14:15], v[2:3] neg_lo:[0,0,1] neg_hi:[0,0,1]
	v_pk_add_f32 v[0:1], v[32:33], v[94:95]
	v_mov_b32_e32 v115, v3
	v_accvgpr_read_b32 v2, a78
	v_pk_add_f32 v[0:1], v[98:99], v[0:1]
	v_accvgpr_read_b32 v3, a79
	v_pk_add_f32 v[0:1], v[102:103], v[0:1]
	v_pk_fma_f32 v[2:3], v[84:85], s[20:21], v[2:3] neg_lo:[0,0,1] neg_hi:[0,0,1]
	v_pk_add_f32 v[0:1], v[106:107], v[0:1]
	v_mov_b32_e32 v119, v3
	v_accvgpr_read_b32 v2, a80
	v_pk_add_f32 v[0:1], v[110:111], v[0:1]
	v_accvgpr_read_b32 v3, a81
	v_pk_add_f32 v[0:1], v[114:115], v[0:1]
	v_pk_fma_f32 v[2:3], v[122:123], s[22:23], v[2:3] neg_lo:[0,0,1] neg_hi:[0,0,1]
	v_pk_add_f32 v[0:1], v[118:119], v[0:1]
	v_mov_b32_e32 v125, v3
	v_pk_add_f32 v[0:1], v[124:125], v[0:1]
	ds_write_b64 v100, v[0:1] offset:2176
	s_waitcnt lgkmcnt(0)
	s_barrier
	global_load_dwordx2 v[32:33], v101, s[8:9] offset:2312
	s_add_u32 s8, s8, 0x908
	s_addc_u32 s9, s9, 0
	global_load_dwordx2 v[0:1], v101, s[8:9] offset:136
	global_load_dwordx2 v[6:7], v101, s[8:9] offset:272
	;; [unrolled: 1-line block ×16, first 2 shown]
	ds_read2_b64 v[34:37], v100 offset1:17
	s_mov_b32 s8, s19
	s_waitcnt vmcnt(15) lgkmcnt(0)
	v_mul_f32_e32 v45, v36, v1
	v_fmac_f32_e32 v45, v37, v0
	v_mul_f32_e32 v2, v35, v33
	v_fma_f32 v42, v34, v32, -v2
	ds_read2_b64 v[2:5], v100 offset0:34 offset1:51
	v_mul_f32_e32 v43, v34, v33
	v_fmac_f32_e32 v43, v35, v32
	v_mul_f32_e32 v32, v37, v1
	v_fma_f32 v44, v36, v0, -v32
	s_waitcnt vmcnt(14) lgkmcnt(0)
	v_mul_f32_e32 v0, v3, v7
	v_mul_f32_e32 v37, v2, v7
	v_fma_f32 v36, v2, v6, -v0
	v_fmac_f32_e32 v37, v3, v6
	ds_read2_b64 v[0:3], v100 offset0:68 offset1:85
	ds_read2_b64 v[32:35], v100 offset0:102 offset1:119
	s_waitcnt vmcnt(13)
	v_mul_f32_e32 v6, v5, v9
	v_fma_f32 v6, v4, v8, -v6
	v_mul_f32_e32 v7, v4, v9
	s_waitcnt vmcnt(12) lgkmcnt(1)
	v_mul_f32_e32 v4, v1, v11
	v_fmac_f32_e32 v7, v5, v8
	v_fma_f32 v4, v0, v10, -v4
	v_mul_f32_e32 v5, v0, v11
	s_waitcnt vmcnt(11)
	v_mul_f32_e32 v0, v3, v13
	v_fma_f32 v8, v2, v12, -v0
	v_mul_f32_e32 v9, v2, v13
	s_waitcnt vmcnt(10) lgkmcnt(0)
	v_mul_f32_e32 v0, v33, v15
	v_fmac_f32_e32 v5, v1, v10
	v_fmac_f32_e32 v9, v3, v12
	v_fma_f32 v10, v32, v14, -v0
	ds_read2_b64 v[0:3], v100 offset0:136 offset1:153
	v_mul_f32_e32 v11, v32, v15
	s_waitcnt vmcnt(9)
	v_mul_f32_e32 v12, v35, v17
	v_mul_f32_e32 v13, v34, v17
	v_fmac_f32_e32 v11, v33, v14
	v_fma_f32 v12, v34, v16, -v12
	v_fmac_f32_e32 v13, v35, v16
	ds_read2_b64 v[32:35], v100 offset0:170 offset1:187
	s_waitcnt vmcnt(8) lgkmcnt(1)
	v_mul_f32_e32 v14, v1, v19
	v_fma_f32 v14, v0, v18, -v14
	v_mul_f32_e32 v15, v0, v19
	s_waitcnt vmcnt(7)
	v_mul_f32_e32 v0, v3, v21
	v_fma_f32 v16, v2, v20, -v0
	v_mul_f32_e32 v17, v2, v21
	s_waitcnt vmcnt(6) lgkmcnt(0)
	v_mul_f32_e32 v0, v33, v23
	v_fmac_f32_e32 v15, v1, v18
	v_fmac_f32_e32 v17, v3, v20
	v_fma_f32 v18, v32, v22, -v0
	ds_read2_b64 v[0:3], v100 offset0:204 offset1:221
	v_mul_f32_e32 v19, v32, v23
	s_waitcnt vmcnt(5)
	v_mul_f32_e32 v20, v35, v25
	v_mul_f32_e32 v21, v34, v25
	v_fmac_f32_e32 v19, v33, v22
	v_fma_f32 v20, v34, v24, -v20
	v_fmac_f32_e32 v21, v35, v24
	ds_read2_b64 v[32:35], v100 offset0:238 offset1:255
	ds_write2_b64 v100, v[42:43], v[44:45] offset1:17
	ds_write2_b64 v100, v[36:37], v[6:7] offset0:34 offset1:51
	ds_write2_b64 v100, v[4:5], v[8:9] offset0:68 offset1:85
	;; [unrolled: 1-line block ×3, first 2 shown]
	ds_read_b64 v[4:5], v100 offset:2176
	s_waitcnt vmcnt(4) lgkmcnt(6)
	v_mul_f32_e32 v22, v1, v27
	v_mul_f32_e32 v23, v0, v27
	v_fma_f32 v22, v0, v26, -v22
	v_fmac_f32_e32 v23, v1, v26
	s_waitcnt vmcnt(3)
	v_mul_f32_e32 v0, v3, v29
	v_mul_f32_e32 v1, v2, v29
	v_fma_f32 v0, v2, v28, -v0
	v_fmac_f32_e32 v1, v3, v28
	s_waitcnt vmcnt(2) lgkmcnt(5)
	v_mul_f32_e32 v2, v33, v31
	v_mul_f32_e32 v3, v32, v31
	s_waitcnt vmcnt(1)
	v_mul_f32_e32 v24, v35, v39
	v_mul_f32_e32 v25, v34, v39
	v_fma_f32 v2, v32, v30, -v2
	v_fmac_f32_e32 v3, v33, v30
	v_fma_f32 v24, v34, v38, -v24
	v_fmac_f32_e32 v25, v35, v38
	ds_write2_b64 v100, v[14:15], v[16:17] offset0:136 offset1:153
	ds_write2_b64 v100, v[18:19], v[20:21] offset0:170 offset1:187
	;; [unrolled: 1-line block ×4, first 2 shown]
	s_waitcnt vmcnt(0) lgkmcnt(4)
	v_mul_f32_e32 v0, v5, v41
	v_mul_f32_e32 v1, v4, v41
	v_fma_f32 v0, v4, v40, -v0
	v_fmac_f32_e32 v1, v5, v40
	ds_write_b64 v100, v[0:1] offset:2176
	s_waitcnt lgkmcnt(0)
	s_barrier
	ds_read2_b64 v[32:35], v100 offset1:17
	ds_read2_b64 v[0:3], v100 offset0:34 offset1:51
	ds_read2_b64 v[36:39], v100 offset0:68 offset1:85
	;; [unrolled: 1-line block ×4, first 2 shown]
	s_waitcnt lgkmcnt(4)
	v_pk_add_f32 v[4:5], v[32:33], v[34:35]
	ds_read2_b64 v[44:47], v100 offset0:170 offset1:187
	s_waitcnt lgkmcnt(4)
	v_pk_add_f32 v[4:5], v[4:5], v[0:1]
	s_waitcnt lgkmcnt(1)
	v_pk_add_f32 v[202:203], v[54:55], v[52:53]
	v_pk_add_f32 v[4:5], v[4:5], v[2:3]
	s_waitcnt lgkmcnt(0)
	v_pk_add_f32 v[144:145], v[46:47], v[40:41]
	v_pk_add_f32 v[4:5], v[4:5], v[36:37]
	v_pk_add_f32 v[150:151], v[40:41], v[46:47] neg_lo:[0,1] neg_hi:[0,1]
	v_pk_add_f32 v[4:5], v[4:5], v[38:39]
	v_pk_add_f32 v[146:147], v[44:45], v[42:43]
	;; [unrolled: 1-line block ×3, first 2 shown]
	v_pk_add_f32 v[148:149], v[42:43], v[44:45] neg_lo:[0,1] neg_hi:[0,1]
	v_pk_add_f32 v[4:5], v[4:5], v[42:43]
	ds_read2_b64 v[40:43], v100 offset0:204 offset1:221
	v_pk_add_f32 v[4:5], v[4:5], v[52:53]
	s_waitcnt lgkmcnt(0)
	v_pk_add_f32 v[178:179], v[36:37], v[42:43] neg_lo:[0,1] neg_hi:[0,1]
	v_pk_add_f32 v[4:5], v[4:5], v[54:55]
	v_pk_add_f32 v[172:173], v[42:43], v[36:37]
	;; [unrolled: 1-line block ×3, first 2 shown]
	v_pk_add_f32 v[190:191], v[38:39], v[40:41] neg_lo:[0,1] neg_hi:[0,1]
	v_pk_add_f32 v[4:5], v[4:5], v[46:47]
	ds_read2_b64 v[44:47], v100 offset0:238 offset1:255
	v_pk_add_f32 v[4:5], v[4:5], v[40:41]
	v_pk_add_f32 v[184:185], v[40:41], v[38:39]
	;; [unrolled: 1-line block ×3, first 2 shown]
	v_pk_add_f32 v[36:37], v[52:53], v[54:55] neg_lo:[0,1] neg_hi:[0,1]
	s_waitcnt lgkmcnt(0)
	v_pk_add_f32 v[192:193], v[46:47], v[0:1]
	v_pk_add_f32 v[196:197], v[0:1], v[46:47] neg_lo:[0,1] neg_hi:[0,1]
	ds_read_b64 v[0:1], v100 offset:2176
	v_pk_add_f32 v[194:195], v[44:45], v[2:3]
	v_pk_add_f32 v[198:199], v[2:3], v[44:45] neg_lo:[0,1] neg_hi:[0,1]
	v_pk_add_f32 v[2:3], v[4:5], v[44:45]
	s_waitcnt lgkmcnt(0)
	v_pk_add_f32 v[2:3], v[2:3], v[46:47]
	v_pk_add_f32 v[200:201], v[34:35], v[0:1] neg_lo:[0,1] neg_hi:[0,1]
	v_pk_add_f32 v[2:3], v[2:3], v[0:1]
	v_pk_add_f32 v[50:51], v[0:1], v[34:35]
	v_pk_mul_f32 v[0:1], v[200:201], s[2:3] op_sel_hi:[1,0]
	s_barrier
	v_pk_fma_f32 v[4:5], v[50:51], s[48:49], v[0:1] op_sel:[0,0,1] op_sel_hi:[1,0,0]
	v_pk_fma_f32 v[82:83], v[50:51], s[48:49], v[0:1] op_sel:[0,0,1] op_sel_hi:[1,0,0] neg_lo:[0,0,1] neg_hi:[0,0,1]
	v_mov_b32_e32 v0, v4
	v_mov_b32_e32 v101, v5
	v_pk_mul_f32 v[4:5], v[196:197], s[16:17] op_sel_hi:[1,0]
	v_mov_b32_e32 v1, v83
	v_pk_fma_f32 v[6:7], v[192:193], s[44:45], v[4:5] op_sel:[0,0,1] op_sel_hi:[1,0,0]
	v_pk_fma_f32 v[86:87], v[192:193], s[44:45], v[4:5] op_sel:[0,0,1] op_sel_hi:[1,0,0] neg_lo:[0,0,1] neg_hi:[0,0,1]
	v_pk_add_f32 v[0:1], v[32:33], v[0:1]
	v_mov_b32_e32 v4, v6
	v_mov_b32_e32 v5, v87
	v_pk_add_f32 v[0:1], v[4:5], v[0:1]
	v_pk_mul_f32 v[4:5], v[198:199], s[24:25] op_sel_hi:[1,0]
	v_accvgpr_write_b32 a43, v7
	v_pk_fma_f32 v[6:7], v[194:195], s[10:11], v[4:5] op_sel:[0,0,1] op_sel_hi:[1,0,0]
	v_pk_fma_f32 v[90:91], v[194:195], s[10:11], v[4:5] op_sel:[0,0,1] op_sel_hi:[1,0,0] neg_lo:[0,0,1] neg_hi:[0,0,1]
	v_mov_b32_e32 v4, v6
	v_mov_b32_e32 v5, v91
	v_pk_add_f32 v[0:1], v[4:5], v[0:1]
	v_pk_mul_f32 v[4:5], v[178:179], s[18:19] op_sel_hi:[1,0]
	v_accvgpr_write_b32 a45, v7
	v_pk_fma_f32 v[6:7], v[172:173], s[8:9], v[4:5] op_sel:[0,0,1] op_sel_hi:[1,0,0]
	v_pk_fma_f32 v[94:95], v[172:173], s[8:9], v[4:5] op_sel:[0,0,1] op_sel_hi:[1,0,0] neg_lo:[0,0,1] neg_hi:[0,0,1]
	;; [unrolled: 7-line block ×3, first 2 shown]
	v_mov_b32_e32 v4, v6
	v_accvgpr_write_b32 a51, v7
	v_mov_b32_e32 v5, v99
	v_pk_mul_f32 v[6:7], v[150:151], s[14:15] op_sel_hi:[1,0]
	v_pk_add_f32 v[0:1], v[4:5], v[0:1]
	v_pk_fma_f32 v[4:5], v[144:145], s[50:51], v[6:7] op_sel:[0,0,1] op_sel_hi:[1,0,0]
	v_pk_fma_f32 v[102:103], v[144:145], s[50:51], v[6:7] op_sel:[0,0,1] op_sel_hi:[1,0,0] neg_lo:[0,0,1] neg_hi:[0,0,1]
	v_mov_b32_e32 v6, v4
	v_mov_b32_e32 v7, v103
	v_pk_add_f32 v[0:1], v[6:7], v[0:1]
	v_pk_mul_f32 v[6:7], v[148:149], s[20:21] op_sel_hi:[1,0]
	v_accvgpr_write_b32 a55, v5
	v_pk_fma_f32 v[4:5], v[146:147], s[52:53], v[6:7] op_sel:[0,0,1] op_sel_hi:[1,0,0]
	v_pk_fma_f32 v[106:107], v[146:147], s[52:53], v[6:7] op_sel:[0,0,1] op_sel_hi:[1,0,0] neg_lo:[0,0,1] neg_hi:[0,0,1]
	v_mov_b32_e32 v6, v4
	v_mov_b32_e32 v7, v107
	v_pk_add_f32 v[0:1], v[6:7], v[0:1]
	v_pk_mul_f32 v[6:7], v[36:37], s[22:23] op_sel_hi:[1,0]
	v_accvgpr_write_b32 a57, v5
	v_pk_fma_f32 v[4:5], v[202:203], s[54:55], v[6:7] op_sel:[0,0,1] op_sel_hi:[1,0,0]
	v_pk_fma_f32 v[110:111], v[202:203], s[54:55], v[6:7] op_sel:[0,0,1] op_sel_hi:[1,0,0] neg_lo:[0,0,1] neg_hi:[0,0,1]
	v_mov_b32_e32 v6, v4
	v_mov_b32_e32 v7, v111
	v_pk_add_f32 v[0:1], v[6:7], v[0:1]
	v_accvgpr_read_b32 v83, a39
	ds_write2_b64 v83, v[2:3], v[0:1] offset1:1
	v_pk_mul_f32 v[0:1], v[200:201], s[16:17] op_sel_hi:[1,0]
	v_accvgpr_write_b32 a59, v5
	v_pk_fma_f32 v[2:3], v[50:51], s[44:45], v[0:1] op_sel:[0,0,1] op_sel_hi:[1,0,0]
	v_pk_fma_f32 v[112:113], v[50:51], s[44:45], v[0:1] op_sel:[0,0,1] op_sel_hi:[1,0,0] neg_lo:[0,0,1] neg_hi:[0,0,1]
	v_mov_b32_e32 v0, v2
	v_mov_b32_e32 v87, v3
	v_pk_mul_f32 v[2:3], v[196:197], s[18:19] op_sel_hi:[1,0]
	v_mov_b32_e32 v1, v113
	v_pk_fma_f32 v[4:5], v[192:193], s[8:9], v[2:3] op_sel:[0,0,1] op_sel_hi:[1,0,0]
	v_pk_fma_f32 v[116:117], v[192:193], s[8:9], v[2:3] op_sel:[0,0,1] op_sel_hi:[1,0,0] neg_lo:[0,0,1] neg_hi:[0,0,1]
	v_pk_add_f32 v[0:1], v[32:33], v[0:1]
	v_mov_b32_e32 v2, v4
	v_mov_b32_e32 v3, v117
	v_pk_add_f32 v[0:1], v[2:3], v[0:1]
	v_pk_mul_f32 v[2:3], v[198:199], s[14:15] op_sel_hi:[1,0]
	v_mov_b32_e32 v91, v5
	v_pk_fma_f32 v[4:5], v[194:195], s[50:51], v[2:3] op_sel:[0,0,1] op_sel_hi:[1,0,0]
	v_pk_fma_f32 v[122:123], v[194:195], s[50:51], v[2:3] op_sel:[0,0,1] op_sel_hi:[1,0,0] neg_lo:[0,0,1] neg_hi:[0,0,1]
	v_mov_b32_e32 v2, v4
	v_mov_b32_e32 v3, v123
	v_pk_add_f32 v[0:1], v[2:3], v[0:1]
	v_pk_mul_f32 v[2:3], v[178:179], s[22:23] op_sel_hi:[1,0]
	v_pk_mul_f32 v[6:7], v[196:197], s[14:15] op_sel_hi:[1,0]
	v_pk_fma_f32 v[124:125], v[172:173], s[54:55], v[2:3] op_sel:[0,0,1] op_sel_hi:[1,0,0]
	v_pk_fma_f32 v[126:127], v[172:173], s[54:55], v[2:3] op_sel:[0,0,1] op_sel_hi:[1,0,0] neg_lo:[0,0,1] neg_hi:[0,0,1]
	v_mov_b32_e32 v2, v124
	v_mov_b32_e32 v3, v127
	v_pk_add_f32 v[0:1], v[2:3], v[0:1]
	v_pk_mul_f32 v[2:3], v[190:191], s[36:37] op_sel_hi:[1,0]
	v_pk_fma_f32 v[158:159], v[192:193], s[50:51], v[6:7] op_sel:[0,0,1] op_sel_hi:[1,0,0]
	v_pk_fma_f32 v[128:129], v[184:185], s[52:53], v[2:3] op_sel:[0,0,1] op_sel_hi:[1,0,0]
	v_pk_fma_f32 v[130:131], v[184:185], s[52:53], v[2:3] op_sel:[0,0,1] op_sel_hi:[1,0,0] neg_lo:[0,0,1] neg_hi:[0,0,1]
	v_mov_b32_e32 v2, v128
	v_mov_b32_e32 v3, v131
	v_pk_add_f32 v[0:1], v[2:3], v[0:1]
	v_pk_mul_f32 v[2:3], v[150:151], s[34:35] op_sel_hi:[1,0]
	v_pk_fma_f32 v[156:157], v[192:193], s[50:51], v[6:7] op_sel:[0,0,1] op_sel_hi:[1,0,0] neg_lo:[0,0,1] neg_hi:[0,0,1]
	v_pk_fma_f32 v[132:133], v[144:145], s[46:47], v[2:3] op_sel:[0,0,1] op_sel_hi:[1,0,0]
	v_pk_fma_f32 v[134:135], v[144:145], s[46:47], v[2:3] op_sel:[0,0,1] op_sel_hi:[1,0,0] neg_lo:[0,0,1] neg_hi:[0,0,1]
	v_mov_b32_e32 v2, v132
	v_mov_b32_e32 v3, v135
	v_pk_add_f32 v[0:1], v[2:3], v[0:1]
	v_pk_mul_f32 v[2:3], v[148:149], s[26:27] op_sel_hi:[1,0]
	v_mov_b32_e32 v6, v158
	v_pk_fma_f32 v[136:137], v[146:147], s[10:11], v[2:3] op_sel:[0,0,1] op_sel_hi:[1,0,0]
	v_pk_fma_f32 v[138:139], v[146:147], s[10:11], v[2:3] op_sel:[0,0,1] op_sel_hi:[1,0,0] neg_lo:[0,0,1] neg_hi:[0,0,1]
	v_mov_b32_e32 v2, v136
	v_mov_b32_e32 v3, v139
	v_pk_add_f32 v[0:1], v[2:3], v[0:1]
	v_pk_mul_f32 v[2:3], v[36:37], s[28:29] op_sel_hi:[1,0]
	v_mov_b32_e32 v7, v157
	v_pk_fma_f32 v[140:141], v[202:203], s[48:49], v[2:3] op_sel:[0,0,1] op_sel_hi:[1,0,0]
	v_pk_fma_f32 v[142:143], v[202:203], s[48:49], v[2:3] op_sel:[0,0,1] op_sel_hi:[1,0,0] neg_lo:[0,0,1] neg_hi:[0,0,1]
	v_mov_b32_e32 v2, v140
	v_mov_b32_e32 v3, v143
	v_pk_add_f32 v[0:1], v[2:3], v[0:1]
	v_pk_mul_f32 v[2:3], v[200:201], s[24:25] op_sel_hi:[1,0]
	v_pk_mul_f32 v[8:9], v[198:199], s[34:35] op_sel_hi:[1,0]
	v_pk_fma_f32 v[154:155], v[50:51], s[10:11], v[2:3] op_sel:[0,0,1] op_sel_hi:[1,0,0]
	v_pk_fma_f32 v[152:153], v[50:51], s[10:11], v[2:3] op_sel:[0,0,1] op_sel_hi:[1,0,0] neg_lo:[0,0,1] neg_hi:[0,0,1]
	v_mov_b32_e32 v2, v154
	v_mov_b32_e32 v3, v153
	v_pk_add_f32 v[2:3], v[32:33], v[2:3]
	v_pk_fma_f32 v[118:119], v[194:195], s[46:47], v[8:9] op_sel:[0,0,1] op_sel_hi:[1,0,0]
	v_pk_add_f32 v[2:3], v[6:7], v[2:3]
	v_pk_mul_f32 v[6:7], v[198:199], s[42:43] op_sel_hi:[1,0]
	v_pk_fma_f32 v[212:213], v[194:195], s[46:47], v[8:9] op_sel:[0,0,1] op_sel_hi:[1,0,0] neg_lo:[0,0,1] neg_hi:[0,0,1]
	v_pk_fma_f32 v[160:161], v[194:195], s[54:55], v[6:7] op_sel:[0,0,1] op_sel_hi:[1,0,0]
	v_pk_fma_f32 v[162:163], v[194:195], s[54:55], v[6:7] op_sel:[0,0,1] op_sel_hi:[1,0,0] neg_lo:[0,0,1] neg_hi:[0,0,1]
	v_mov_b32_e32 v6, v160
	v_mov_b32_e32 v7, v163
	v_pk_add_f32 v[2:3], v[6:7], v[2:3]
	v_pk_mul_f32 v[6:7], v[178:179], s[34:35] op_sel_hi:[1,0]
	v_mov_b32_e32 v8, v118
	v_pk_fma_f32 v[164:165], v[172:173], s[46:47], v[6:7] op_sel:[0,0,1] op_sel_hi:[1,0,0]
	v_pk_fma_f32 v[166:167], v[172:173], s[46:47], v[6:7] op_sel:[0,0,1] op_sel_hi:[1,0,0] neg_lo:[0,0,1] neg_hi:[0,0,1]
	v_mov_b32_e32 v6, v164
	v_mov_b32_e32 v7, v167
	v_pk_add_f32 v[2:3], v[6:7], v[2:3]
	v_pk_mul_f32 v[6:7], v[190:191], s[30:31] op_sel_hi:[1,0]
	v_mov_b32_e32 v9, v213
	v_pk_fma_f32 v[168:169], v[184:185], s[44:45], v[6:7] op_sel:[0,0,1] op_sel_hi:[1,0,0]
	v_pk_fma_f32 v[170:171], v[184:185], s[44:45], v[6:7] op_sel:[0,0,1] op_sel_hi:[1,0,0] neg_lo:[0,0,1] neg_hi:[0,0,1]
	v_mov_b32_e32 v6, v168
	v_mov_b32_e32 v7, v171
	v_pk_add_f32 v[2:3], v[6:7], v[2:3]
	v_pk_mul_f32 v[6:7], v[150:151], s[2:3] op_sel_hi:[1,0]
	v_pk_mul_f32 v[10:11], v[196:197], s[36:37] op_sel_hi:[1,0]
	v_pk_fma_f32 v[174:175], v[144:145], s[48:49], v[6:7] op_sel:[0,0,1] op_sel_hi:[1,0,0]
	v_pk_fma_f32 v[176:177], v[144:145], s[48:49], v[6:7] op_sel:[0,0,1] op_sel_hi:[1,0,0] neg_lo:[0,0,1] neg_hi:[0,0,1]
	v_mov_b32_e32 v6, v174
	v_mov_b32_e32 v7, v177
	v_pk_add_f32 v[2:3], v[6:7], v[2:3]
	v_pk_mul_f32 v[6:7], v[148:149], s[18:19] op_sel_hi:[1,0]
	v_pk_fma_f32 v[96:97], v[192:193], s[52:53], v[10:11] op_sel:[0,0,1] op_sel_hi:[1,0,0]
	v_pk_fma_f32 v[180:181], v[146:147], s[8:9], v[6:7] op_sel:[0,0,1] op_sel_hi:[1,0,0]
	v_pk_fma_f32 v[182:183], v[146:147], s[8:9], v[6:7] op_sel:[0,0,1] op_sel_hi:[1,0,0] neg_lo:[0,0,1] neg_hi:[0,0,1]
	v_mov_b32_e32 v6, v180
	v_mov_b32_e32 v7, v183
	v_pk_add_f32 v[2:3], v[6:7], v[2:3]
	v_pk_mul_f32 v[6:7], v[36:37], s[20:21] op_sel_hi:[1,0]
	v_pk_fma_f32 v[48:49], v[192:193], s[52:53], v[10:11] op_sel:[0,0,1] op_sel_hi:[1,0,0] neg_lo:[0,0,1] neg_hi:[0,0,1]
	v_pk_fma_f32 v[186:187], v[202:203], s[52:53], v[6:7] op_sel:[0,0,1] op_sel_hi:[1,0,0]
	v_pk_fma_f32 v[188:189], v[202:203], s[52:53], v[6:7] op_sel:[0,0,1] op_sel_hi:[1,0,0] neg_lo:[0,0,1] neg_hi:[0,0,1]
	v_mov_b32_e32 v6, v186
	v_mov_b32_e32 v7, v189
	v_pk_add_f32 v[2:3], v[6:7], v[2:3]
	ds_write2_b64 v83, v[0:1], v[2:3] offset0:2 offset1:3
	v_pk_mul_f32 v[0:1], v[200:201], s[18:19] op_sel_hi:[1,0]
	v_pk_mul_f32 v[6:7], v[196:197], s[22:23] op_sel_hi:[1,0]
	v_pk_fma_f32 v[204:205], v[50:51], s[8:9], v[0:1] op_sel:[0,0,1] op_sel_hi:[1,0,0]
	v_pk_fma_f32 v[38:39], v[50:51], s[8:9], v[0:1] op_sel:[0,0,1] op_sel_hi:[1,0,0] neg_lo:[0,0,1] neg_hi:[0,0,1]
	v_mov_b32_e32 v0, v204
	v_mov_b32_e32 v1, v39
	v_pk_fma_f32 v[120:121], v[192:193], s[54:55], v[6:7] op_sel:[0,0,1] op_sel_hi:[1,0,0]
	v_pk_fma_f32 v[206:207], v[192:193], s[54:55], v[6:7] op_sel:[0,0,1] op_sel_hi:[1,0,0] neg_lo:[0,0,1] neg_hi:[0,0,1]
	v_pk_add_f32 v[2:3], v[32:33], v[0:1]
	v_mov_b32_e32 v6, v120
	v_mov_b32_e32 v7, v207
	v_pk_add_f32 v[6:7], v[6:7], v[2:3]
	v_mov_b32_e32 v10, v96
	v_pk_add_f32 v[6:7], v[8:9], v[6:7]
	v_pk_mul_f32 v[8:9], v[178:179], s[28:29] op_sel_hi:[1,0]
	v_mov_b32_e32 v11, v49
	v_pk_fma_f32 v[214:215], v[172:173], s[48:49], v[8:9] op_sel:[0,0,1] op_sel_hi:[1,0,0]
	v_pk_fma_f32 v[216:217], v[172:173], s[48:49], v[8:9] op_sel:[0,0,1] op_sel_hi:[1,0,0] neg_lo:[0,0,1] neg_hi:[0,0,1]
	v_mov_b32_e32 v8, v214
	v_mov_b32_e32 v9, v217
	v_pk_add_f32 v[6:7], v[8:9], v[6:7]
	v_pk_mul_f32 v[8:9], v[190:191], s[24:25] op_sel_hi:[1,0]
	v_pk_mul_f32 v[12:13], v[196:197], s[34:35] op_sel_hi:[1,0]
	v_pk_fma_f32 v[218:219], v[184:185], s[10:11], v[8:9] op_sel:[0,0,1] op_sel_hi:[1,0,0]
	v_pk_fma_f32 v[220:221], v[184:185], s[10:11], v[8:9] op_sel:[0,0,1] op_sel_hi:[1,0,0] neg_lo:[0,0,1] neg_hi:[0,0,1]
	v_mov_b32_e32 v8, v218
	v_mov_b32_e32 v9, v221
	v_pk_add_f32 v[6:7], v[8:9], v[6:7]
	v_pk_mul_f32 v[8:9], v[150:151], s[20:21] op_sel_hi:[1,0]
	v_pk_fma_f32 v[58:59], v[192:193], s[46:47], v[12:13] op_sel:[0,0,1] op_sel_hi:[1,0,0]
	v_pk_fma_f32 v[114:115], v[144:145], s[52:53], v[8:9] op_sel:[0,0,1] op_sel_hi:[1,0,0]
	v_pk_fma_f32 v[222:223], v[144:145], s[52:53], v[8:9] op_sel:[0,0,1] op_sel_hi:[1,0,0] neg_lo:[0,0,1] neg_hi:[0,0,1]
	v_mov_b32_e32 v8, v114
	v_mov_b32_e32 v9, v223
	v_pk_add_f32 v[6:7], v[8:9], v[6:7]
	v_pk_mul_f32 v[8:9], v[148:149], s[38:39] op_sel_hi:[1,0]
	v_pk_fma_f32 v[12:13], v[192:193], s[46:47], v[12:13] op_sel:[0,0,1] op_sel_hi:[1,0,0] neg_lo:[0,0,1] neg_hi:[0,0,1]
	v_pk_fma_f32 v[108:109], v[146:147], s[50:51], v[8:9] op_sel:[0,0,1] op_sel_hi:[1,0,0]
	v_pk_fma_f32 v[224:225], v[146:147], s[50:51], v[8:9] op_sel:[0,0,1] op_sel_hi:[1,0,0] neg_lo:[0,0,1] neg_hi:[0,0,1]
	v_mov_b32_e32 v8, v108
	v_mov_b32_e32 v9, v225
	v_pk_add_f32 v[6:7], v[8:9], v[6:7]
	v_pk_mul_f32 v[8:9], v[36:37], s[30:31] op_sel_hi:[1,0]
	v_mov_b32_e32 v16, v58
	v_pk_fma_f32 v[226:227], v[202:203], s[44:45], v[8:9] op_sel:[0,0,1] op_sel_hi:[1,0,0]
	v_pk_fma_f32 v[228:229], v[202:203], s[44:45], v[8:9] op_sel:[0,0,1] op_sel_hi:[1,0,0] neg_lo:[0,0,1] neg_hi:[0,0,1]
	v_mov_b32_e32 v8, v226
	v_mov_b32_e32 v9, v229
	v_pk_add_f32 v[6:7], v[8:9], v[6:7]
	v_pk_mul_f32 v[8:9], v[200:201], s[12:13] op_sel_hi:[1,0]
	v_mov_b32_e32 v17, v13
	v_pk_fma_f32 v[104:105], v[50:51], s[46:47], v[8:9] op_sel:[0,0,1] op_sel_hi:[1,0,0]
	v_pk_fma_f32 v[44:45], v[50:51], s[46:47], v[8:9] op_sel:[0,0,1] op_sel_hi:[1,0,0] neg_lo:[0,0,1] neg_hi:[0,0,1]
	v_mov_b32_e32 v8, v104
	v_mov_b32_e32 v9, v45
	v_pk_add_f32 v[8:9], v[32:33], v[8:9]
	v_pk_mul_f32 v[210:211], v[196:197], s[26:27] op_sel_hi:[1,0]
	v_pk_add_f32 v[8:9], v[10:11], v[8:9]
	v_pk_mul_f32 v[10:11], v[198:199], s[30:31] op_sel_hi:[1,0]
	v_pk_fma_f32 v[238:239], v[192:193], s[10:11], v[210:211] op_sel:[0,0,1] op_sel_hi:[1,0,0]
	v_pk_fma_f32 v[92:93], v[194:195], s[44:45], v[10:11] op_sel:[0,0,1] op_sel_hi:[1,0,0]
	v_pk_fma_f32 v[56:57], v[194:195], s[44:45], v[10:11] op_sel:[0,0,1] op_sel_hi:[1,0,0] neg_lo:[0,0,1] neg_hi:[0,0,1]
	v_mov_b32_e32 v10, v92
	v_mov_b32_e32 v11, v57
	v_pk_add_f32 v[8:9], v[10:11], v[8:9]
	v_pk_mul_f32 v[10:11], v[178:179], s[24:25] op_sel_hi:[1,0]
	v_pk_fma_f32 v[210:211], v[192:193], s[10:11], v[210:211] op_sel:[0,0,1] op_sel_hi:[1,0,0] neg_lo:[0,0,1] neg_hi:[0,0,1]
	v_pk_fma_f32 v[88:89], v[172:173], s[10:11], v[10:11] op_sel:[0,0,1] op_sel_hi:[1,0,0]
	v_pk_fma_f32 v[60:61], v[172:173], s[10:11], v[10:11] op_sel:[0,0,1] op_sel_hi:[1,0,0] neg_lo:[0,0,1] neg_hi:[0,0,1]
	v_mov_b32_e32 v10, v88
	v_mov_b32_e32 v11, v61
	v_pk_add_f32 v[8:9], v[10:11], v[8:9]
	v_pk_mul_f32 v[10:11], v[190:191], s[22:23] op_sel_hi:[1,0]
	v_mov_b32_e32 v244, v238
	v_pk_fma_f32 v[84:85], v[184:185], s[54:55], v[10:11] op_sel:[0,0,1] op_sel_hi:[1,0,0]
	v_pk_fma_f32 v[64:65], v[184:185], s[54:55], v[10:11] op_sel:[0,0,1] op_sel_hi:[1,0,0] neg_lo:[0,0,1] neg_hi:[0,0,1]
	v_mov_b32_e32 v10, v84
	v_mov_b32_e32 v11, v65
	v_pk_add_f32 v[8:9], v[10:11], v[8:9]
	v_pk_mul_f32 v[10:11], v[150:151], s[40:41] op_sel_hi:[1,0]
	v_mov_b32_e32 v245, v211
	;; [unrolled: 7-line block ×4, first 2 shown]
	v_pk_fma_f32 v[234:235], v[202:203], s[50:51], v[10:11] op_sel:[0,0,1] op_sel_hi:[1,0,0]
	v_pk_fma_f32 v[236:237], v[202:203], s[50:51], v[10:11] op_sel:[0,0,1] op_sel_hi:[1,0,0] neg_lo:[0,0,1] neg_hi:[0,0,1]
	v_mov_b32_e32 v10, v234
	v_mov_b32_e32 v11, v237
	v_pk_add_f32 v[8:9], v[10:11], v[8:9]
	ds_write2_b64 v83, v[6:7], v[8:9] offset0:4 offset1:5
	v_pk_mul_f32 v[6:7], v[200:201], s[14:15] op_sel_hi:[1,0]
	v_mov_b32_e32 v13, v59
	v_pk_fma_f32 v[62:63], v[50:51], s[50:51], v[6:7] op_sel:[0,0,1] op_sel_hi:[1,0,0]
	v_pk_fma_f32 v[6:7], v[50:51], s[50:51], v[6:7] op_sel:[0,0,1] op_sel_hi:[1,0,0] neg_lo:[0,0,1] neg_hi:[0,0,1]
	v_mov_b32_e32 v10, v62
	v_mov_b32_e32 v11, v7
	v_pk_add_f32 v[10:11], v[32:33], v[10:11]
	v_mov_b32_e32 v7, v63
	v_pk_add_f32 v[10:11], v[16:17], v[10:11]
	v_pk_mul_f32 v[16:17], v[198:199], s[2:3] op_sel_hi:[1,0]
	v_mov_b32_e32 v45, v105
	v_pk_fma_f32 v[54:55], v[194:195], s[48:49], v[16:17] op_sel:[0,0,1] op_sel_hi:[1,0,0]
	v_pk_fma_f32 v[16:17], v[194:195], s[48:49], v[16:17] op_sel:[0,0,1] op_sel_hi:[1,0,0] neg_lo:[0,0,1] neg_hi:[0,0,1]
	v_mov_b32_e32 v20, v54
	v_mov_b32_e32 v21, v17
	v_pk_add_f32 v[10:11], v[20:21], v[10:11]
	v_pk_mul_f32 v[20:21], v[178:179], s[20:21] op_sel_hi:[1,0]
	v_mov_b32_e32 v17, v55
	v_pk_fma_f32 v[52:53], v[172:173], s[52:53], v[20:21] op_sel:[0,0,1] op_sel_hi:[1,0,0]
	v_pk_fma_f32 v[20:21], v[172:173], s[52:53], v[20:21] op_sel:[0,0,1] op_sel_hi:[1,0,0] neg_lo:[0,0,1] neg_hi:[0,0,1]
	v_mov_b32_e32 v24, v52
	;; [unrolled: 7-line block ×7, first 2 shown]
	v_mov_b32_e32 v209, v79
	v_pk_add_f32 v[208:209], v[32:33], v[208:209]
	v_mov_b32_e32 v79, v81
	v_pk_add_f32 v[208:209], v[244:245], v[208:209]
	v_pk_mul_f32 v[244:245], v[198:199], s[18:19] op_sel_hi:[1,0]
	v_mov_b32_e32 v39, v205
	v_pk_fma_f32 v[40:41], v[194:195], s[8:9], v[244:245] op_sel:[0,0,1] op_sel_hi:[1,0,0]
	v_pk_fma_f32 v[244:245], v[194:195], s[8:9], v[244:245] op_sel:[0,0,1] op_sel_hi:[1,0,0] neg_lo:[0,0,1] neg_hi:[0,0,1]
	v_mov_b32_e32 v254, v40
	v_mov_b32_e32 v255, v245
	v_pk_add_f32 v[208:209], v[254:255], v[208:209]
	v_pk_mul_f32 v[254:255], v[178:179], s[38:39] op_sel_hi:[1,0]
	v_pk_mul_f32 v[178:179], v[178:179], s[30:31] op_sel_hi:[1,0]
	v_pk_fma_f32 v[34:35], v[172:173], s[50:51], v[254:255] op_sel:[0,0,1] op_sel_hi:[1,0,0]
	v_pk_fma_f32 v[254:255], v[172:173], s[50:51], v[254:255] op_sel:[0,0,1] op_sel_hi:[1,0,0] neg_lo:[0,0,1] neg_hi:[0,0,1]
	v_mov_b32_e32 v0, v34
	v_mov_b32_e32 v1, v255
	v_pk_add_f32 v[0:1], v[0:1], v[208:209]
	v_pk_mul_f32 v[208:209], v[190:191], s[2:3] op_sel_hi:[1,0]
	v_pk_mul_f32 v[190:191], v[190:191], s[14:15] op_sel_hi:[1,0]
	;; [unrolled: 7-line block ×5, first 2 shown]
	v_pk_fma_f32 v[18:19], v[202:203], s[46:47], v[8:9] op_sel:[0,0,1] op_sel_hi:[1,0,0]
	v_pk_fma_f32 v[8:9], v[202:203], s[46:47], v[8:9] op_sel:[0,0,1] op_sel_hi:[1,0,0] neg_lo:[0,0,1] neg_hi:[0,0,1]
	v_mov_b32_e32 v14, v18
	v_mov_b32_e32 v15, v9
	v_pk_add_f32 v[0:1], v[14:15], v[0:1]
	ds_write2_b64 v83, v[10:11], v[0:1] offset0:6 offset1:7
	v_pk_mul_f32 v[0:1], v[200:201], s[22:23] op_sel_hi:[1,0]
	v_pk_mul_f32 v[14:15], v[196:197], s[28:29] op_sel_hi:[1,0]
	v_pk_fma_f32 v[10:11], v[50:51], s[54:55], v[0:1] op_sel:[0,0,1] op_sel_hi:[1,0,0]
	v_pk_fma_f32 v[0:1], v[50:51], s[54:55], v[0:1] op_sel:[0,0,1] op_sel_hi:[1,0,0] neg_lo:[0,0,1] neg_hi:[0,0,1]
	v_pk_fma_f32 v[50:51], v[192:193], s[48:49], v[14:15] op_sel:[0,0,1] op_sel_hi:[1,0,0]
	v_pk_fma_f32 v[14:15], v[192:193], s[48:49], v[14:15] op_sel:[0,0,1] op_sel_hi:[1,0,0] neg_lo:[0,0,1] neg_hi:[0,0,1]
	v_mov_b32_e32 v192, v10
	v_mov_b32_e32 v193, v1
	v_pk_add_f32 v[192:193], v[32:33], v[192:193]
	v_mov_b32_e32 v196, v50
	v_mov_b32_e32 v197, v15
	v_pk_add_f32 v[192:193], v[196:197], v[192:193]
	v_pk_mul_f32 v[196:197], v[198:199], s[20:21] op_sel_hi:[1,0]
	v_mov_b32_e32 v1, v11
	v_pk_fma_f32 v[198:199], v[194:195], s[52:53], v[196:197] op_sel:[0,0,1] op_sel_hi:[1,0,0]
	v_pk_fma_f32 v[194:195], v[194:195], s[52:53], v[196:197] op_sel:[0,0,1] op_sel_hi:[1,0,0] neg_lo:[0,0,1] neg_hi:[0,0,1]
	v_mov_b32_e32 v196, v198
	v_mov_b32_e32 v197, v195
	v_pk_add_f32 v[192:193], v[196:197], v[192:193]
	v_pk_fma_f32 v[196:197], v[172:173], s[44:45], v[178:179] op_sel:[0,0,1] op_sel_hi:[1,0,0]
	v_pk_fma_f32 v[172:173], v[172:173], s[44:45], v[178:179] op_sel:[0,0,1] op_sel_hi:[1,0,0] neg_lo:[0,0,1] neg_hi:[0,0,1]
	v_mov_b32_e32 v178, v196
	v_mov_b32_e32 v179, v173
	v_pk_add_f32 v[178:179], v[178:179], v[192:193]
	v_pk_fma_f32 v[192:193], v[184:185], s[50:51], v[190:191] op_sel:[0,0,1] op_sel_hi:[1,0,0]
	v_pk_fma_f32 v[184:185], v[184:185], s[50:51], v[190:191] op_sel:[0,0,1] op_sel_hi:[1,0,0] neg_lo:[0,0,1] neg_hi:[0,0,1]
	v_mov_b32_e32 v190, v192
	v_mov_b32_e32 v191, v185
	;; [unrolled: 1-line block ×3, first 2 shown]
	v_pk_add_f32 v[0:1], v[32:33], v[0:1]
	v_pk_add_f32 v[178:179], v[190:191], v[178:179]
	v_pk_fma_f32 v[190:191], v[144:145], s[10:11], v[150:151] op_sel:[0,0,1] op_sel_hi:[1,0,0]
	v_pk_fma_f32 v[144:145], v[144:145], s[10:11], v[150:151] op_sel:[0,0,1] op_sel_hi:[1,0,0] neg_lo:[0,0,1] neg_hi:[0,0,1]
	v_pk_add_f32 v[0:1], v[14:15], v[0:1]
	v_mov_b32_e32 v195, v199
	v_mov_b32_e32 v150, v190
	v_mov_b32_e32 v151, v145
	v_pk_add_f32 v[0:1], v[194:195], v[0:1]
	v_mov_b32_e32 v173, v197
	v_pk_add_f32 v[150:151], v[150:151], v[178:179]
	v_pk_fma_f32 v[178:179], v[146:147], s[46:47], v[148:149] op_sel:[0,0,1] op_sel_hi:[1,0,0]
	v_pk_fma_f32 v[146:147], v[146:147], s[46:47], v[148:149] op_sel:[0,0,1] op_sel_hi:[1,0,0] neg_lo:[0,0,1] neg_hi:[0,0,1]
	v_pk_add_f32 v[0:1], v[172:173], v[0:1]
	v_mov_b32_e32 v185, v193
	v_mov_b32_e32 v148, v178
	v_mov_b32_e32 v149, v147
	v_pk_add_f32 v[0:1], v[184:185], v[0:1]
	v_mov_b32_e32 v145, v191
	;; [unrolled: 9-line block ×3, first 2 shown]
	v_pk_add_f32 v[148:149], v[200:201], v[148:149]
	v_pk_add_f32 v[0:1], v[36:37], v[0:1]
	v_accvgpr_read_b32 v10, a39
	ds_write2_b64 v10, v[148:149], v[0:1] offset0:8 offset1:9
	v_pk_add_f32 v[0:1], v[32:33], v[78:79]
	v_mov_b32_e32 v245, v41
	v_pk_add_f32 v[0:1], v[210:211], v[0:1]
	v_mov_b32_e32 v255, v35
	;; [unrolled: 2-line block ×5, first 2 shown]
	v_pk_add_f32 v[0:1], v[2:3], v[0:1]
	v_pk_add_f32 v[2:3], v[32:33], v[6:7]
	;; [unrolled: 1-line block ×4, first 2 shown]
	v_mov_b32_e32 v9, v19
	v_pk_add_f32 v[2:3], v[16:17], v[2:3]
	v_pk_add_f32 v[0:1], v[8:9], v[0:1]
	;; [unrolled: 1-line block ×3, first 2 shown]
	v_mov_b32_e32 v49, v97
	v_pk_add_f32 v[2:3], v[24:25], v[2:3]
	v_mov_b32_e32 v207, v121
	v_pk_add_f32 v[2:3], v[28:29], v[2:3]
	;; [unrolled: 2-line block ×4, first 2 shown]
	ds_write2_b64 v10, v[0:1], v[2:3] offset0:10 offset1:11
	v_pk_add_f32 v[0:1], v[32:33], v[44:45]
	v_pk_add_f32 v[2:3], v[32:33], v[38:39]
	;; [unrolled: 1-line block ×5, first 2 shown]
	v_mov_b32_e32 v61, v89
	v_pk_add_f32 v[2:3], v[212:213], v[2:3]
	v_mov_b32_e32 v217, v215
	v_pk_add_f32 v[0:1], v[60:61], v[0:1]
	;; [unrolled: 2-line block ×10, first 2 shown]
	v_pk_add_f32 v[2:3], v[228:229], v[2:3]
	v_mov_b32_e32 v153, v155
	v_mov_b32_e32 v113, v87
	ds_write2_b64 v10, v[0:1], v[2:3] offset0:12 offset1:13
	v_mov_b32_e32 v157, v159
	v_pk_add_f32 v[0:1], v[32:33], v[152:153]
	v_mov_b32_e32 v117, v91
	v_pk_add_f32 v[2:3], v[32:33], v[112:113]
	v_pk_add_f32 v[0:1], v[156:157], v[0:1]
	v_mov_b32_e32 v163, v161
	v_pk_add_f32 v[2:3], v[116:117], v[2:3]
	v_mov_b32_e32 v123, v95
	;; [unrolled: 2-line block ×12, first 2 shown]
	v_pk_add_f32 v[0:1], v[188:189], v[0:1]
	v_pk_add_f32 v[2:3], v[142:143], v[2:3]
	v_mov_b32_e32 v83, v101
	ds_write2_b64 v10, v[0:1], v[2:3] offset0:14 offset1:15
	v_pk_add_f32 v[0:1], v[32:33], v[82:83]
	v_accvgpr_read_b32 v87, a43
	v_pk_add_f32 v[0:1], v[86:87], v[0:1]
	v_accvgpr_read_b32 v91, a45
	;; [unrolled: 2-line block ×7, first 2 shown]
	v_pk_add_f32 v[0:1], v[110:111], v[0:1]
	ds_write_b64 v10, v[0:1] offset:128
	s_waitcnt lgkmcnt(0)
	s_barrier
	ds_read2_b64 v[0:3], v100 offset0:136 offset1:153
	ds_read2_b64 v[32:35], v100 offset0:170 offset1:187
	v_accvgpr_read_b32 v4, a58
	v_accvgpr_read_b32 v8, a62
	;; [unrolled: 1-line block ×3, first 2 shown]
	s_waitcnt lgkmcnt(1)
	v_pk_mul_f32 v[4:5], v[4:5], v[0:1] op_sel_hi:[0,1]
	v_accvgpr_read_b32 v10, a64
	v_pk_fma_f32 v[6:7], v[10:11], v[0:1], v[4:5] op_sel:[0,0,1] op_sel_hi:[1,1,0]
	v_pk_fma_f32 v[0:1], v[10:11], v[0:1], v[4:5] op_sel:[0,0,1] op_sel_hi:[0,1,0] neg_lo:[0,0,1] neg_hi:[0,0,1]
	v_mov_b64_e32 v[36:37], v[8:9]
	v_accvgpr_read_b32 v8, a52
	v_accvgpr_read_b32 v9, a53
	;; [unrolled: 1-line block ×4, first 2 shown]
	v_pk_mul_f32 v[4:5], v[8:9], v[2:3] op_sel:[1,0]
	v_mov_b32_e32 v7, v1
	s_waitcnt lgkmcnt(0)
	v_pk_mul_f32 v[0:1], v[0:1], v[32:33] op_sel_hi:[0,1]
	v_pk_fma_f32 v[30:31], v[8:9], v[2:3], v[4:5] op_sel:[0,0,1] op_sel_hi:[1,1,0]
	v_pk_fma_f32 v[4:5], v[8:9], v[2:3], v[4:5] op_sel:[0,0,1] op_sel_hi:[0,1,0] neg_lo:[0,0,1] neg_hi:[0,0,1]
	v_pk_fma_f32 v[26:27], v[10:11], v[32:33], v[0:1] op_sel:[0,0,1] op_sel_hi:[1,1,0]
	v_pk_fma_f32 v[8:9], v[10:11], v[32:33], v[0:1] op_sel:[0,0,1] op_sel_hi:[0,1,0] neg_lo:[0,0,1] neg_hi:[0,0,1]
	ds_read2_b64 v[0:3], v100 offset0:204 offset1:221
	v_mov_b32_e32 v27, v9
	v_accvgpr_read_b32 v8, a46
	v_accvgpr_read_b32 v9, a47
	v_mov_b32_e32 v31, v5
	v_pk_mul_f32 v[4:5], v[8:9], v[34:35] op_sel:[1,0]
	v_accvgpr_read_b32 v10, a48
	v_pk_fma_f32 v[22:23], v[8:9], v[34:35], v[4:5] op_sel:[0,0,1] op_sel_hi:[1,1,0]
	v_pk_fma_f32 v[4:5], v[8:9], v[34:35], v[4:5] op_sel:[0,0,1] op_sel_hi:[0,1,0] neg_lo:[0,0,1] neg_hi:[0,0,1]
	v_accvgpr_read_b32 v4, a50
	v_mov_b32_e32 v23, v5
	s_waitcnt lgkmcnt(0)
	v_pk_mul_f32 v[4:5], v[4:5], v[0:1] op_sel_hi:[0,1]
	ds_read2_b64 v[12:15], v100 offset0:238 offset1:255
	v_pk_fma_f32 v[18:19], v[10:11], v[0:1], v[4:5] op_sel:[0,0,1] op_sel_hi:[1,1,0]
	v_pk_fma_f32 v[4:5], v[10:11], v[0:1], v[4:5] op_sel:[0,0,1] op_sel_hi:[0,1,0] neg_lo:[0,0,1] neg_hi:[0,0,1]
	v_accvgpr_read_b32 v8, a40
	v_accvgpr_read_b32 v9, a41
	v_pk_mul_f32 v[0:1], v[8:9], v[2:3] op_sel:[1,0]
	v_accvgpr_read_b32 v10, a42
	v_pk_fma_f32 v[16:17], v[8:9], v[2:3], v[0:1] op_sel:[0,0,1] op_sel_hi:[1,1,0]
	v_pk_fma_f32 v[8:9], v[8:9], v[2:3], v[0:1] op_sel:[0,0,1] op_sel_hi:[0,1,0] neg_lo:[0,0,1] neg_hi:[0,0,1]
	v_accvgpr_read_b32 v8, a44
	v_mov_b32_e32 v17, v9
	s_waitcnt lgkmcnt(0)
	v_pk_mul_f32 v[8:9], v[8:9], v[12:13] op_sel_hi:[0,1]
	v_mov_b32_e32 v19, v5
	ds_read_b64 v[4:5], v100 offset:2176
	v_pk_fma_f32 v[20:21], v[10:11], v[12:13], v[8:9] op_sel:[0,0,1] op_sel_hi:[1,1,0]
	v_pk_fma_f32 v[8:9], v[10:11], v[12:13], v[8:9] op_sel:[0,0,1] op_sel_hi:[0,1,0] neg_lo:[0,0,1] neg_hi:[0,0,1]
	v_accvgpr_read_b32 v10, a36
	v_accvgpr_read_b32 v11, a37
	ds_read2_b64 v[0:3], v100 offset0:34 offset1:51
	v_mov_b32_e32 v21, v9
	v_pk_mul_f32 v[8:9], v[10:11], v[14:15] op_sel:[1,0]
	v_accvgpr_read_b32 v12, a38
	v_pk_fma_f32 v[24:25], v[10:11], v[14:15], v[8:9] op_sel:[0,0,1] op_sel_hi:[1,1,0]
	v_pk_fma_f32 v[8:9], v[10:11], v[14:15], v[8:9] op_sel:[0,0,1] op_sel_hi:[0,1,0] neg_lo:[0,0,1] neg_hi:[0,0,1]
	v_accvgpr_read_b32 v8, a60
	v_mov_b32_e32 v25, v9
	s_waitcnt lgkmcnt(1)
	v_pk_mul_f32 v[8:9], v[8:9], v[4:5] op_sel_hi:[0,1]
	v_pk_fma_f32 v[28:29], v[12:13], v[4:5], v[8:9] op_sel:[0,0,1] op_sel_hi:[1,1,0]
	v_pk_fma_f32 v[4:5], v[12:13], v[4:5], v[8:9] op_sel:[0,0,1] op_sel_hi:[0,1,0] neg_lo:[0,0,1] neg_hi:[0,0,1]
	ds_read2_b64 v[8:11], v100 offset0:68 offset1:85
	ds_read2_b64 v[12:15], v100 offset0:102 offset1:119
	v_mov_b32_e32 v29, v5
	s_waitcnt lgkmcnt(2)
	v_pk_mul_f32 v[4:5], v[246:247], v[2:3] op_sel:[1,0]
	v_pk_add_f32 v[62:63], v[6:7], v[30:31] neg_lo:[0,1] neg_hi:[0,1]
	v_pk_fma_f32 v[32:33], v[246:247], v[2:3], v[4:5] op_sel:[0,0,1] op_sel_hi:[1,1,0]
	v_pk_fma_f32 v[2:3], v[246:247], v[2:3], v[4:5] op_sel:[0,0,1] op_sel_hi:[0,1,0] neg_lo:[0,0,1] neg_hi:[0,0,1]
	v_mov_b32_e32 v2, v249
	v_mov_b32_e32 v33, v3
	s_waitcnt lgkmcnt(1)
	v_pk_mul_f32 v[2:3], v[2:3], v[8:9] op_sel_hi:[0,1]
	v_pk_fma_f32 v[34:35], v[248:249], v[8:9], v[2:3] op_sel:[0,0,1] op_sel_hi:[1,1,0]
	v_pk_fma_f32 v[8:9], v[248:249], v[8:9], v[2:3] op_sel:[0,0,1] op_sel_hi:[0,1,0] neg_lo:[0,0,1] neg_hi:[0,0,1]
	v_pk_mul_f32 v[2:3], v[240:241], v[10:11] op_sel:[1,0]
	v_mov_b32_e32 v8, v243
	v_pk_fma_f32 v[50:51], v[240:241], v[10:11], v[2:3] op_sel:[0,0,1] op_sel_hi:[1,1,0]
	v_pk_fma_f32 v[10:11], v[240:241], v[10:11], v[2:3] op_sel:[0,0,1] op_sel_hi:[0,1,0] neg_lo:[0,0,1] neg_hi:[0,0,1]
	ds_read2_b64 v[2:5], v100 offset1:17
	v_mov_b32_e32 v35, v9
	s_waitcnt lgkmcnt(1)
	v_pk_mul_f32 v[8:9], v[8:9], v[12:13] op_sel_hi:[0,1]
	v_pk_fma_f32 v[56:57], v[242:243], v[12:13], v[8:9] op_sel:[0,0,1] op_sel_hi:[1,1,0]
	v_pk_fma_f32 v[8:9], v[242:243], v[12:13], v[8:9] op_sel:[0,0,1] op_sel_hi:[0,1,0] neg_lo:[0,0,1] neg_hi:[0,0,1]
	v_mov_b32_e32 v57, v9
	v_pk_mul_f32 v[8:9], v[36:37], v[14:15] op_sel:[1,0]
	v_mov_b32_e32 v51, v11
	v_pk_fma_f32 v[60:61], v[36:37], v[14:15], v[8:9] op_sel:[0,0,1] op_sel_hi:[1,1,0]
	v_pk_fma_f32 v[8:9], v[36:37], v[14:15], v[8:9] op_sel:[0,0,1] op_sel_hi:[0,1,0] neg_lo:[0,0,1] neg_hi:[0,0,1]
	v_mov_b32_e32 v61, v9
	s_waitcnt lgkmcnt(0)
	v_pk_mul_f32 v[8:9], v[250:251], v[4:5] op_sel:[1,0]
	v_pk_add_f32 v[46:47], v[32:33], v[20:21] neg_lo:[0,1] neg_hi:[0,1]
	v_pk_fma_f32 v[10:11], v[250:251], v[4:5], v[8:9] op_sel:[0,0,1] op_sel_hi:[1,1,0]
	v_pk_fma_f32 v[4:5], v[250:251], v[4:5], v[8:9] op_sel:[0,0,1] op_sel_hi:[0,1,0] neg_lo:[0,0,1] neg_hi:[0,0,1]
	v_mov_b32_e32 v4, v253
	v_mov_b32_e32 v11, v5
	v_pk_mul_f32 v[4:5], v[4:5], v[0:1] op_sel_hi:[0,1]
	v_pk_fma_f32 v[8:9], v[252:253], v[0:1], v[4:5] op_sel:[0,0,1] op_sel_hi:[1,1,0]
	v_pk_fma_f32 v[0:1], v[252:253], v[0:1], v[4:5] op_sel:[0,0,1] op_sel_hi:[0,1,0] neg_lo:[0,0,1] neg_hi:[0,0,1]
	v_mov_b32_e32 v9, v1
	v_pk_add_f32 v[0:1], v[2:3], v[10:11]
	v_pk_add_f32 v[42:43], v[10:11], v[28:29] neg_lo:[0,1] neg_hi:[0,1]
	v_pk_add_f32 v[0:1], v[0:1], v[8:9]
	v_pk_add_f32 v[36:37], v[10:11], v[28:29]
	;; [unrolled: 1-line block ×3, first 2 shown]
	v_pk_mul_f32 v[4:5], v[42:43], s[2:3] op_sel_hi:[1,0]
	v_pk_add_f32 v[0:1], v[0:1], v[34:35]
	v_pk_add_f32 v[48:49], v[8:9], v[24:25] neg_lo:[0,1] neg_hi:[0,1]
	v_pk_add_f32 v[0:1], v[0:1], v[50:51]
	v_pk_fma_f32 v[10:11], v[36:37], s[48:49], v[4:5] op_sel:[0,0,1] op_sel_hi:[1,0,0]
	v_pk_add_f32 v[0:1], v[0:1], v[56:57]
	v_pk_fma_f32 v[80:81], v[36:37], s[48:49], v[4:5] op_sel:[0,0,1] op_sel_hi:[1,0,0] neg_lo:[0,0,1] neg_hi:[0,0,1]
	v_pk_add_f32 v[0:1], v[0:1], v[60:61]
	v_pk_add_f32 v[40:41], v[8:9], v[24:25]
	;; [unrolled: 1-line block ×3, first 2 shown]
	v_pk_mul_f32 v[8:9], v[48:49], s[16:17] op_sel_hi:[1,0]
	v_pk_add_f32 v[0:1], v[0:1], v[30:31]
	v_mov_b32_e32 v101, v11
	v_pk_add_f32 v[0:1], v[0:1], v[26:27]
	v_mov_b32_e32 v11, v81
	v_pk_add_f32 v[0:1], v[0:1], v[22:23]
	v_pk_fma_f32 v[12:13], v[40:41], s[44:45], v[8:9] op_sel:[0,0,1] op_sel_hi:[1,0,0]
	v_pk_fma_f32 v[66:67], v[40:41], s[44:45], v[8:9] op_sel:[0,0,1] op_sel_hi:[1,0,0] neg_lo:[0,0,1] neg_hi:[0,0,1]
	v_pk_add_f32 v[0:1], v[0:1], v[18:19]
	v_pk_add_f32 v[10:11], v[2:3], v[10:11]
	v_accvgpr_write_b32 a37, v13
	v_mov_b32_e32 v13, v67
	v_pk_add_f32 v[0:1], v[0:1], v[16:17]
	v_pk_add_f32 v[14:15], v[12:13], v[10:11]
	;; [unrolled: 1-line block ×3, first 2 shown]
	v_pk_mul_f32 v[12:13], v[46:47], s[24:25] op_sel_hi:[1,0]
	v_pk_add_f32 v[52:53], v[34:35], v[16:17] neg_lo:[0,1] neg_hi:[0,1]
	v_pk_add_f32 v[0:1], v[0:1], v[20:21]
	v_pk_fma_f32 v[20:21], v[38:39], s[10:11], v[12:13] op_sel:[0,0,1] op_sel_hi:[1,0,0]
	v_pk_fma_f32 v[12:13], v[38:39], s[10:11], v[12:13] op_sel:[0,0,1] op_sel_hi:[1,0,0] neg_lo:[0,0,1] neg_hi:[0,0,1]
	v_pk_add_f32 v[44:45], v[34:35], v[16:17]
	v_pk_mul_f32 v[16:17], v[52:53], s[18:19] op_sel_hi:[1,0]
	v_pk_add_f32 v[0:1], v[0:1], v[24:25]
	v_accvgpr_write_b32 a39, v21
	v_mov_b32_e32 v21, v13
	v_pk_fma_f32 v[24:25], v[44:45], s[8:9], v[16:17] op_sel:[0,0,1] op_sel_hi:[1,0,0]
	v_pk_fma_f32 v[16:17], v[44:45], s[8:9], v[16:17] op_sel:[0,0,1] op_sel_hi:[1,0,0] neg_lo:[0,0,1] neg_hi:[0,0,1]
	v_pk_add_f32 v[20:21], v[20:21], v[14:15]
	v_accvgpr_write_b32 a41, v25
	v_mov_b32_e32 v25, v17
	v_pk_add_f32 v[54:55], v[50:51], v[18:19] neg_lo:[0,1] neg_hi:[0,1]
	v_pk_add_f32 v[24:25], v[24:25], v[20:21]
	v_pk_add_f32 v[132:133], v[50:51], v[18:19]
	v_pk_mul_f32 v[20:21], v[54:55], s[12:13] op_sel_hi:[1,0]
	v_pk_add_f32 v[64:65], v[0:1], v[28:29]
	v_pk_fma_f32 v[28:29], v[132:133], s[46:47], v[20:21] op_sel:[0,0,1] op_sel_hi:[1,0,0]
	v_pk_fma_f32 v[20:21], v[132:133], s[46:47], v[20:21] op_sel:[0,0,1] op_sel_hi:[1,0,0] neg_lo:[0,0,1] neg_hi:[0,0,1]
	v_accvgpr_write_b32 a43, v29
	v_mov_b32_e32 v29, v21
	v_pk_add_f32 v[58:59], v[56:57], v[22:23] neg_lo:[0,1] neg_hi:[0,1]
	v_pk_add_f32 v[28:29], v[28:29], v[24:25]
	v_pk_add_f32 v[134:135], v[56:57], v[22:23]
	v_pk_mul_f32 v[24:25], v[58:59], s[14:15] op_sel_hi:[1,0]
	v_pk_add_f32 v[56:57], v[60:61], v[26:27]
	v_pk_fma_f32 v[190:191], v[134:135], s[50:51], v[24:25] op_sel:[0,0,1] op_sel_hi:[1,0,0]
	v_pk_fma_f32 v[24:25], v[134:135], s[50:51], v[24:25] op_sel:[0,0,1] op_sel_hi:[1,0,0] neg_lo:[0,0,1] neg_hi:[0,0,1]
	v_mov_b32_e32 v32, v190
	v_mov_b32_e32 v33, v25
	v_pk_add_f32 v[60:61], v[60:61], v[26:27] neg_lo:[0,1] neg_hi:[0,1]
	v_pk_add_f32 v[32:33], v[32:33], v[28:29]
	v_pk_mul_f32 v[28:29], v[60:61], s[20:21] op_sel_hi:[1,0]
	v_pk_add_f32 v[138:139], v[6:7], v[30:31]
	v_pk_fma_f32 v[26:27], v[56:57], s[52:53], v[28:29] op_sel:[0,0,1] op_sel_hi:[1,0,0]
	v_pk_fma_f32 v[28:29], v[56:57], s[52:53], v[28:29] op_sel:[0,0,1] op_sel_hi:[1,0,0] neg_lo:[0,0,1] neg_hi:[0,0,1]
	v_mov_b32_e32 v34, v26
	v_mov_b32_e32 v35, v29
	v_pk_mul_f32 v[6:7], v[62:63], s[22:23] op_sel_hi:[1,0]
	v_pk_add_f32 v[34:35], v[34:35], v[32:33]
	v_pk_fma_f32 v[30:31], v[138:139], s[54:55], v[6:7] op_sel:[0,0,1] op_sel_hi:[1,0,0]
	v_pk_fma_f32 v[32:33], v[138:139], s[54:55], v[6:7] op_sel:[0,0,1] op_sel_hi:[1,0,0] neg_lo:[0,0,1] neg_hi:[0,0,1]
	v_mov_b32_e32 v6, v30
	v_mov_b32_e32 v7, v33
	v_pk_add_f32 v[6:7], v[6:7], v[34:35]
	ds_write2_b64 v100, v[64:65], v[6:7] offset1:17
	v_pk_mul_f32 v[6:7], v[42:43], s[16:17] op_sel_hi:[1,0]
	v_pk_mul_f32 v[50:51], v[48:49], s[18:19] op_sel_hi:[1,0]
	v_pk_fma_f32 v[22:23], v[36:37], s[44:45], v[6:7] op_sel:[0,0,1] op_sel_hi:[1,0,0]
	v_pk_fma_f32 v[34:35], v[36:37], s[44:45], v[6:7] op_sel:[0,0,1] op_sel_hi:[1,0,0] neg_lo:[0,0,1] neg_hi:[0,0,1]
	v_mov_b32_e32 v6, v22
	v_mov_b32_e32 v7, v35
	v_pk_fma_f32 v[18:19], v[40:41], s[8:9], v[50:51] op_sel:[0,0,1] op_sel_hi:[1,0,0]
	v_pk_fma_f32 v[78:79], v[40:41], s[8:9], v[50:51] op_sel:[0,0,1] op_sel_hi:[1,0,0] neg_lo:[0,0,1] neg_hi:[0,0,1]
	v_pk_add_f32 v[6:7], v[2:3], v[6:7]
	v_mov_b32_e32 v50, v18
	v_mov_b32_e32 v51, v79
	v_pk_add_f32 v[6:7], v[50:51], v[6:7]
	v_pk_mul_f32 v[50:51], v[46:47], s[14:15] op_sel_hi:[1,0]
	v_pk_mul_f32 v[64:65], v[52:53], s[22:23] op_sel_hi:[1,0]
	v_pk_fma_f32 v[92:93], v[38:39], s[50:51], v[50:51] op_sel:[0,0,1] op_sel_hi:[1,0,0]
	v_pk_fma_f32 v[94:95], v[38:39], s[50:51], v[50:51] op_sel:[0,0,1] op_sel_hi:[1,0,0] neg_lo:[0,0,1] neg_hi:[0,0,1]
	v_mov_b32_e32 v50, v92
	v_mov_b32_e32 v51, v95
	v_pk_fma_f32 v[14:15], v[44:45], s[54:55], v[64:65] op_sel:[0,0,1] op_sel_hi:[1,0,0]
	v_pk_fma_f32 v[74:75], v[44:45], s[54:55], v[64:65] op_sel:[0,0,1] op_sel_hi:[1,0,0] neg_lo:[0,0,1] neg_hi:[0,0,1]
	v_pk_add_f32 v[50:51], v[50:51], v[6:7]
	v_mov_b32_e32 v64, v14
	v_mov_b32_e32 v65, v75
	v_pk_add_f32 v[50:51], v[64:65], v[50:51]
	v_pk_mul_f32 v[64:65], v[54:55], s[36:37] op_sel_hi:[1,0]
	v_pk_mul_f32 v[68:69], v[48:49], s[14:15] op_sel_hi:[1,0]
	v_pk_fma_f32 v[82:83], v[132:133], s[52:53], v[64:65] op_sel:[0,0,1] op_sel_hi:[1,0,0]
	v_pk_fma_f32 v[90:91], v[132:133], s[52:53], v[64:65] op_sel:[0,0,1] op_sel_hi:[1,0,0] neg_lo:[0,0,1] neg_hi:[0,0,1]
	v_mov_b32_e32 v64, v82
	v_mov_b32_e32 v65, v91
	v_pk_add_f32 v[50:51], v[64:65], v[50:51]
	v_pk_mul_f32 v[64:65], v[58:59], s[34:35] op_sel_hi:[1,0]
	v_pk_fma_f32 v[108:109], v[40:41], s[50:51], v[68:69] op_sel:[0,0,1] op_sel_hi:[1,0,0]
	v_pk_fma_f32 v[84:85], v[134:135], s[46:47], v[64:65] op_sel:[0,0,1] op_sel_hi:[1,0,0]
	v_pk_fma_f32 v[76:77], v[134:135], s[46:47], v[64:65] op_sel:[0,0,1] op_sel_hi:[1,0,0] neg_lo:[0,0,1] neg_hi:[0,0,1]
	v_mov_b32_e32 v64, v84
	v_mov_b32_e32 v65, v77
	v_pk_add_f32 v[50:51], v[64:65], v[50:51]
	v_pk_mul_f32 v[64:65], v[60:61], s[26:27] op_sel_hi:[1,0]
	v_pk_fma_f32 v[106:107], v[40:41], s[50:51], v[68:69] op_sel:[0,0,1] op_sel_hi:[1,0,0] neg_lo:[0,0,1] neg_hi:[0,0,1]
	v_pk_fma_f32 v[86:87], v[56:57], s[10:11], v[64:65] op_sel:[0,0,1] op_sel_hi:[1,0,0]
	v_pk_fma_f32 v[88:89], v[56:57], s[10:11], v[64:65] op_sel:[0,0,1] op_sel_hi:[1,0,0] neg_lo:[0,0,1] neg_hi:[0,0,1]
	v_mov_b32_e32 v64, v86
	v_mov_b32_e32 v65, v89
	v_pk_add_f32 v[50:51], v[64:65], v[50:51]
	v_pk_mul_f32 v[64:65], v[62:63], s[28:29] op_sel_hi:[1,0]
	v_mov_b32_e32 v68, v108
	v_pk_fma_f32 v[96:97], v[138:139], s[48:49], v[64:65] op_sel:[0,0,1] op_sel_hi:[1,0,0]
	v_pk_fma_f32 v[98:99], v[138:139], s[48:49], v[64:65] op_sel:[0,0,1] op_sel_hi:[1,0,0] neg_lo:[0,0,1] neg_hi:[0,0,1]
	v_mov_b32_e32 v64, v96
	v_mov_b32_e32 v65, v99
	v_pk_add_f32 v[64:65], v[64:65], v[50:51]
	v_pk_mul_f32 v[50:51], v[42:43], s[24:25] op_sel_hi:[1,0]
	v_mov_b32_e32 v69, v107
	v_pk_fma_f32 v[104:105], v[36:37], s[10:11], v[50:51] op_sel:[0,0,1] op_sel_hi:[1,0,0]
	v_pk_fma_f32 v[102:103], v[36:37], s[10:11], v[50:51] op_sel:[0,0,1] op_sel_hi:[1,0,0] neg_lo:[0,0,1] neg_hi:[0,0,1]
	v_mov_b32_e32 v50, v104
	v_mov_b32_e32 v51, v103
	v_pk_add_f32 v[50:51], v[2:3], v[50:51]
	v_pk_mul_f32 v[70:71], v[60:61], s[18:19] op_sel_hi:[1,0]
	v_pk_add_f32 v[50:51], v[68:69], v[50:51]
	v_pk_mul_f32 v[68:69], v[46:47], s[42:43] op_sel_hi:[1,0]
	v_pk_fma_f32 v[126:127], v[56:57], s[8:9], v[70:71] op_sel:[0,0,1] op_sel_hi:[1,0,0] neg_lo:[0,0,1] neg_hi:[0,0,1]
	v_pk_fma_f32 v[110:111], v[38:39], s[54:55], v[68:69] op_sel:[0,0,1] op_sel_hi:[1,0,0]
	v_pk_fma_f32 v[112:113], v[38:39], s[54:55], v[68:69] op_sel:[0,0,1] op_sel_hi:[1,0,0] neg_lo:[0,0,1] neg_hi:[0,0,1]
	v_mov_b32_e32 v68, v110
	v_mov_b32_e32 v69, v113
	v_pk_add_f32 v[50:51], v[68:69], v[50:51]
	v_pk_mul_f32 v[68:69], v[52:53], s[34:35] op_sel_hi:[1,0]
	v_pk_mul_f32 v[202:203], v[48:49], s[34:35] op_sel_hi:[1,0]
	v_pk_fma_f32 v[114:115], v[44:45], s[46:47], v[68:69] op_sel:[0,0,1] op_sel_hi:[1,0,0]
	v_pk_fma_f32 v[116:117], v[44:45], s[46:47], v[68:69] op_sel:[0,0,1] op_sel_hi:[1,0,0] neg_lo:[0,0,1] neg_hi:[0,0,1]
	v_mov_b32_e32 v68, v114
	v_mov_b32_e32 v69, v117
	v_pk_add_f32 v[50:51], v[68:69], v[50:51]
	v_pk_mul_f32 v[68:69], v[54:55], s[30:31] op_sel_hi:[1,0]
	v_pk_fma_f32 v[204:205], v[40:41], s[46:47], v[202:203] op_sel:[0,0,1] op_sel_hi:[1,0,0]
	v_pk_fma_f32 v[118:119], v[132:133], s[44:45], v[68:69] op_sel:[0,0,1] op_sel_hi:[1,0,0]
	v_pk_fma_f32 v[120:121], v[132:133], s[44:45], v[68:69] op_sel:[0,0,1] op_sel_hi:[1,0,0] neg_lo:[0,0,1] neg_hi:[0,0,1]
	v_mov_b32_e32 v68, v118
	v_mov_b32_e32 v69, v121
	v_pk_add_f32 v[50:51], v[68:69], v[50:51]
	v_pk_mul_f32 v[68:69], v[58:59], s[2:3] op_sel_hi:[1,0]
	v_pk_fma_f32 v[202:203], v[40:41], s[46:47], v[202:203] op_sel:[0,0,1] op_sel_hi:[1,0,0] neg_lo:[0,0,1] neg_hi:[0,0,1]
	v_pk_fma_f32 v[122:123], v[134:135], s[48:49], v[68:69] op_sel:[0,0,1] op_sel_hi:[1,0,0]
	v_pk_fma_f32 v[124:125], v[134:135], s[48:49], v[68:69] op_sel:[0,0,1] op_sel_hi:[1,0,0] neg_lo:[0,0,1] neg_hi:[0,0,1]
	v_mov_b32_e32 v68, v122
	v_mov_b32_e32 v69, v125
	v_pk_add_f32 v[68:69], v[68:69], v[50:51]
	v_pk_fma_f32 v[50:51], v[56:57], s[8:9], v[70:71] op_sel:[0,0,1] op_sel_hi:[1,0,0]
	v_mov_b32_e32 v71, v127
	v_mov_b32_e32 v70, v50
	v_pk_add_f32 v[68:69], v[70:71], v[68:69]
	v_pk_mul_f32 v[70:71], v[62:63], s[20:21] op_sel_hi:[1,0]
	v_mov_b32_e32 v206, v204
	v_pk_fma_f32 v[128:129], v[138:139], s[52:53], v[70:71] op_sel:[0,0,1] op_sel_hi:[1,0,0]
	v_pk_fma_f32 v[130:131], v[138:139], s[52:53], v[70:71] op_sel:[0,0,1] op_sel_hi:[1,0,0] neg_lo:[0,0,1] neg_hi:[0,0,1]
	v_mov_b32_e32 v70, v128
	v_mov_b32_e32 v71, v131
	v_pk_add_f32 v[68:69], v[70:71], v[68:69]
	ds_write2_b64 v100, v[64:65], v[68:69] offset0:34 offset1:51
	v_pk_mul_f32 v[64:65], v[42:43], s[18:19] op_sel_hi:[1,0]
	v_pk_mul_f32 v[68:69], v[48:49], s[22:23] op_sel_hi:[1,0]
	v_pk_fma_f32 v[140:141], v[36:37], s[8:9], v[64:65] op_sel:[0,0,1] op_sel_hi:[1,0,0]
	v_pk_fma_f32 v[136:137], v[36:37], s[8:9], v[64:65] op_sel:[0,0,1] op_sel_hi:[1,0,0] neg_lo:[0,0,1] neg_hi:[0,0,1]
	v_mov_b32_e32 v64, v140
	v_mov_b32_e32 v65, v137
	v_pk_fma_f32 v[144:145], v[40:41], s[54:55], v[68:69] op_sel:[0,0,1] op_sel_hi:[1,0,0]
	v_pk_fma_f32 v[142:143], v[40:41], s[54:55], v[68:69] op_sel:[0,0,1] op_sel_hi:[1,0,0] neg_lo:[0,0,1] neg_hi:[0,0,1]
	v_pk_add_f32 v[64:65], v[2:3], v[64:65]
	v_mov_b32_e32 v68, v144
	v_mov_b32_e32 v69, v143
	v_pk_mul_f32 v[70:71], v[46:47], s[34:35] op_sel_hi:[1,0]
	v_pk_add_f32 v[68:69], v[68:69], v[64:65]
	v_pk_fma_f32 v[64:65], v[38:39], s[46:47], v[70:71] op_sel:[0,0,1] op_sel_hi:[1,0,0]
	v_pk_fma_f32 v[146:147], v[38:39], s[46:47], v[70:71] op_sel:[0,0,1] op_sel_hi:[1,0,0] neg_lo:[0,0,1] neg_hi:[0,0,1]
	v_mov_b32_e32 v70, v64
	v_mov_b32_e32 v71, v147
	v_pk_add_f32 v[68:69], v[70:71], v[68:69]
	v_pk_mul_f32 v[70:71], v[52:53], s[28:29] op_sel_hi:[1,0]
	v_mov_b32_e32 v207, v203
	v_pk_fma_f32 v[148:149], v[44:45], s[48:49], v[70:71] op_sel:[0,0,1] op_sel_hi:[1,0,0]
	v_pk_fma_f32 v[150:151], v[44:45], s[48:49], v[70:71] op_sel:[0,0,1] op_sel_hi:[1,0,0] neg_lo:[0,0,1] neg_hi:[0,0,1]
	v_mov_b32_e32 v70, v148
	v_mov_b32_e32 v71, v151
	v_pk_add_f32 v[68:69], v[70:71], v[68:69]
	v_pk_mul_f32 v[70:71], v[54:55], s[24:25] op_sel_hi:[1,0]
	v_pk_mul_f32 v[236:237], v[48:49], s[26:27] op_sel_hi:[1,0]
	v_pk_fma_f32 v[152:153], v[132:133], s[10:11], v[70:71] op_sel:[0,0,1] op_sel_hi:[1,0,0]
	v_pk_fma_f32 v[154:155], v[132:133], s[10:11], v[70:71] op_sel:[0,0,1] op_sel_hi:[1,0,0] neg_lo:[0,0,1] neg_hi:[0,0,1]
	v_mov_b32_e32 v70, v152
	v_mov_b32_e32 v71, v155
	v_pk_add_f32 v[68:69], v[70:71], v[68:69]
	v_pk_mul_f32 v[70:71], v[58:59], s[20:21] op_sel_hi:[1,0]
	v_pk_fma_f32 v[238:239], v[40:41], s[10:11], v[236:237] op_sel:[0,0,1] op_sel_hi:[1,0,0]
	v_pk_fma_f32 v[156:157], v[134:135], s[52:53], v[70:71] op_sel:[0,0,1] op_sel_hi:[1,0,0]
	v_pk_fma_f32 v[158:159], v[134:135], s[52:53], v[70:71] op_sel:[0,0,1] op_sel_hi:[1,0,0] neg_lo:[0,0,1] neg_hi:[0,0,1]
	v_mov_b32_e32 v70, v156
	v_mov_b32_e32 v71, v159
	v_pk_add_f32 v[68:69], v[70:71], v[68:69]
	v_pk_mul_f32 v[70:71], v[60:61], s[38:39] op_sel_hi:[1,0]
	v_pk_fma_f32 v[236:237], v[40:41], s[10:11], v[236:237] op_sel:[0,0,1] op_sel_hi:[1,0,0] neg_lo:[0,0,1] neg_hi:[0,0,1]
	v_pk_fma_f32 v[160:161], v[56:57], s[50:51], v[70:71] op_sel:[0,0,1] op_sel_hi:[1,0,0]
	v_pk_fma_f32 v[162:163], v[56:57], s[50:51], v[70:71] op_sel:[0,0,1] op_sel_hi:[1,0,0] neg_lo:[0,0,1] neg_hi:[0,0,1]
	v_mov_b32_e32 v70, v160
	v_mov_b32_e32 v71, v163
	v_pk_add_f32 v[68:69], v[70:71], v[68:69]
	v_pk_mul_f32 v[70:71], v[62:63], s[30:31] op_sel_hi:[1,0]
	v_mov_b32_e32 v240, v238
	v_pk_fma_f32 v[164:165], v[138:139], s[44:45], v[70:71] op_sel:[0,0,1] op_sel_hi:[1,0,0]
	v_pk_fma_f32 v[166:167], v[138:139], s[44:45], v[70:71] op_sel:[0,0,1] op_sel_hi:[1,0,0] neg_lo:[0,0,1] neg_hi:[0,0,1]
	v_mov_b32_e32 v70, v164
	v_mov_b32_e32 v71, v167
	v_pk_add_f32 v[192:193], v[70:71], v[68:69]
	v_pk_mul_f32 v[68:69], v[42:43], s[12:13] op_sel_hi:[1,0]
	v_mov_b32_e32 v241, v237
	;; [unrolled: 7-line block ×9, first 2 shown]
	v_pk_fma_f32 v[198:199], v[138:139], s[50:51], v[196:197] op_sel:[0,0,1] op_sel_hi:[1,0,0]
	v_pk_fma_f32 v[196:197], v[138:139], s[50:51], v[196:197] op_sel:[0,0,1] op_sel_hi:[1,0,0] neg_lo:[0,0,1] neg_hi:[0,0,1]
	v_mov_b32_e32 v200, v198
	v_mov_b32_e32 v201, v197
	v_pk_add_f32 v[194:195], v[200:201], v[194:195]
	ds_write2_b64 v100, v[192:193], v[194:195] offset0:68 offset1:85
	v_pk_mul_f32 v[192:193], v[42:43], s[14:15] op_sel_hi:[1,0]
	v_mov_b32_e32 v147, v65
	v_pk_fma_f32 v[194:195], v[36:37], s[50:51], v[192:193] op_sel:[0,0,1] op_sel_hi:[1,0,0]
	v_pk_fma_f32 v[192:193], v[36:37], s[50:51], v[192:193] op_sel:[0,0,1] op_sel_hi:[1,0,0] neg_lo:[0,0,1] neg_hi:[0,0,1]
	v_mov_b32_e32 v200, v194
	v_mov_b32_e32 v201, v193
	v_pk_add_f32 v[200:201], v[2:3], v[200:201]
	v_mov_b32_e32 v193, v195
	v_pk_add_f32 v[200:201], v[206:207], v[200:201]
	v_pk_mul_f32 v[206:207], v[46:47], s[2:3] op_sel_hi:[1,0]
	v_mov_b32_e32 v177, v175
	v_pk_fma_f32 v[208:209], v[38:39], s[48:49], v[206:207] op_sel:[0,0,1] op_sel_hi:[1,0,0]
	v_pk_fma_f32 v[206:207], v[38:39], s[48:49], v[206:207] op_sel:[0,0,1] op_sel_hi:[1,0,0] neg_lo:[0,0,1] neg_hi:[0,0,1]
	v_mov_b32_e32 v210, v208
	v_mov_b32_e32 v211, v207
	v_pk_add_f32 v[200:201], v[210:211], v[200:201]
	v_pk_mul_f32 v[210:211], v[52:53], s[20:21] op_sel_hi:[1,0]
	v_mov_b32_e32 v207, v209
	v_pk_fma_f32 v[212:213], v[44:45], s[52:53], v[210:211] op_sel:[0,0,1] op_sel_hi:[1,0,0]
	v_pk_fma_f32 v[210:211], v[44:45], s[52:53], v[210:211] op_sel:[0,0,1] op_sel_hi:[1,0,0] neg_lo:[0,0,1] neg_hi:[0,0,1]
	v_mov_b32_e32 v214, v212
	;; [unrolled: 7-line block ×7, first 2 shown]
	v_mov_b32_e32 v235, v231
	v_pk_add_f32 v[234:235], v[2:3], v[234:235]
	v_mov_b32_e32 v231, v233
	v_pk_add_f32 v[234:235], v[240:241], v[234:235]
	v_pk_mul_f32 v[240:241], v[46:47], s[18:19] op_sel_hi:[1,0]
	v_pk_mul_f32 v[46:47], v[46:47], s[20:21] op_sel_hi:[1,0]
	v_pk_fma_f32 v[242:243], v[38:39], s[8:9], v[240:241] op_sel:[0,0,1] op_sel_hi:[1,0,0]
	v_pk_fma_f32 v[240:241], v[38:39], s[8:9], v[240:241] op_sel:[0,0,1] op_sel_hi:[1,0,0] neg_lo:[0,0,1] neg_hi:[0,0,1]
	v_mov_b32_e32 v244, v242
	v_mov_b32_e32 v245, v241
	v_pk_add_f32 v[234:235], v[244:245], v[234:235]
	v_pk_mul_f32 v[244:245], v[52:53], s[38:39] op_sel_hi:[1,0]
	v_mov_b32_e32 v241, v243
	v_pk_fma_f32 v[246:247], v[44:45], s[50:51], v[244:245] op_sel:[0,0,1] op_sel_hi:[1,0,0]
	v_pk_fma_f32 v[244:245], v[44:45], s[50:51], v[244:245] op_sel:[0,0,1] op_sel_hi:[1,0,0] neg_lo:[0,0,1] neg_hi:[0,0,1]
	v_mov_b32_e32 v248, v246
	v_mov_b32_e32 v249, v245
	v_pk_add_f32 v[234:235], v[248:249], v[234:235]
	v_pk_mul_f32 v[248:249], v[54:55], s[2:3] op_sel_hi:[1,0]
	v_mov_b32_e32 v245, v247
	v_pk_fma_f32 v[250:251], v[132:133], s[48:49], v[248:249] op_sel:[0,0,1] op_sel_hi:[1,0,0]
	v_pk_fma_f32 v[248:249], v[132:133], s[48:49], v[248:249] op_sel:[0,0,1] op_sel_hi:[1,0,0] neg_lo:[0,0,1] neg_hi:[0,0,1]
	v_mov_b32_e32 v252, v250
	v_mov_b32_e32 v253, v249
	v_pk_add_f32 v[234:235], v[252:253], v[234:235]
	v_pk_mul_f32 v[252:253], v[58:59], s[22:23] op_sel_hi:[1,0]
	v_pk_mul_f32 v[58:59], v[58:59], s[26:27] op_sel_hi:[1,0]
	v_pk_fma_f32 v[10:11], v[134:135], s[54:55], v[252:253] op_sel:[0,0,1] op_sel_hi:[1,0,0]
	v_pk_fma_f32 v[252:253], v[134:135], s[54:55], v[252:253] op_sel:[0,0,1] op_sel_hi:[1,0,0] neg_lo:[0,0,1] neg_hi:[0,0,1]
	v_mov_b32_e32 v254, v10
	v_mov_b32_e32 v255, v253
	v_pk_add_f32 v[234:235], v[254:255], v[234:235]
	v_pk_mul_f32 v[254:255], v[60:61], s[30:31] op_sel_hi:[1,0]
	v_pk_mul_f32 v[60:61], v[60:61], s[12:13] op_sel_hi:[1,0]
	v_pk_fma_f32 v[8:9], v[56:57], s[44:45], v[254:255] op_sel:[0,0,1] op_sel_hi:[1,0,0]
	v_pk_fma_f32 v[254:255], v[56:57], s[44:45], v[254:255] op_sel:[0,0,1] op_sel_hi:[1,0,0] neg_lo:[0,0,1] neg_hi:[0,0,1]
	v_mov_b32_e32 v0, v8
	v_mov_b32_e32 v1, v255
	v_pk_add_f32 v[0:1], v[0:1], v[234:235]
	v_pk_mul_f32 v[234:235], v[62:63], s[12:13] op_sel_hi:[1,0]
	v_mov_b32_e32 v249, v251
	v_pk_fma_f32 v[6:7], v[138:139], s[46:47], v[234:235] op_sel:[0,0,1] op_sel_hi:[1,0,0]
	v_pk_fma_f32 v[234:235], v[138:139], s[46:47], v[234:235] op_sel:[0,0,1] op_sel_hi:[1,0,0] neg_lo:[0,0,1] neg_hi:[0,0,1]
	v_mov_b32_e32 v4, v6
	v_mov_b32_e32 v5, v235
	v_pk_add_f32 v[0:1], v[4:5], v[0:1]
	ds_write2_b64 v100, v[200:201], v[0:1] offset0:102 offset1:119
	v_pk_mul_f32 v[0:1], v[42:43], s[22:23] op_sel_hi:[1,0]
	v_mov_b32_e32 v253, v11
	v_pk_fma_f32 v[4:5], v[36:37], s[54:55], v[0:1] op_sel:[0,0,1] op_sel_hi:[1,0,0]
	v_pk_fma_f32 v[0:1], v[36:37], s[54:55], v[0:1] op_sel:[0,0,1] op_sel_hi:[1,0,0] neg_lo:[0,0,1] neg_hi:[0,0,1]
	v_pk_mul_f32 v[36:37], v[48:49], s[28:29] op_sel_hi:[1,0]
	v_mov_b32_e32 v255, v9
	v_pk_fma_f32 v[42:43], v[40:41], s[48:49], v[36:37] op_sel:[0,0,1] op_sel_hi:[1,0,0]
	v_pk_fma_f32 v[36:37], v[40:41], s[48:49], v[36:37] op_sel:[0,0,1] op_sel_hi:[1,0,0] neg_lo:[0,0,1] neg_hi:[0,0,1]
	v_mov_b32_e32 v40, v4
	v_mov_b32_e32 v41, v1
	v_pk_add_f32 v[40:41], v[2:3], v[40:41]
	v_mov_b32_e32 v48, v42
	v_mov_b32_e32 v49, v37
	v_pk_add_f32 v[40:41], v[48:49], v[40:41]
	v_pk_fma_f32 v[48:49], v[38:39], s[52:53], v[46:47] op_sel:[0,0,1] op_sel_hi:[1,0,0]
	v_pk_fma_f32 v[38:39], v[38:39], s[52:53], v[46:47] op_sel:[0,0,1] op_sel_hi:[1,0,0] neg_lo:[0,0,1] neg_hi:[0,0,1]
	v_mov_b32_e32 v46, v48
	v_mov_b32_e32 v47, v39
	v_pk_add_f32 v[40:41], v[46:47], v[40:41]
	v_pk_mul_f32 v[46:47], v[52:53], s[30:31] op_sel_hi:[1,0]
	v_mov_b32_e32 v1, v5
	v_pk_fma_f32 v[52:53], v[44:45], s[44:45], v[46:47] op_sel:[0,0,1] op_sel_hi:[1,0,0]
	v_pk_fma_f32 v[44:45], v[44:45], s[44:45], v[46:47] op_sel:[0,0,1] op_sel_hi:[1,0,0] neg_lo:[0,0,1] neg_hi:[0,0,1]
	v_mov_b32_e32 v46, v52
	v_mov_b32_e32 v47, v45
	v_pk_add_f32 v[40:41], v[46:47], v[40:41]
	v_pk_mul_f32 v[46:47], v[54:55], s[14:15] op_sel_hi:[1,0]
	v_mov_b32_e32 v37, v43
	v_pk_fma_f32 v[54:55], v[132:133], s[50:51], v[46:47] op_sel:[0,0,1] op_sel_hi:[1,0,0]
	v_pk_fma_f32 v[46:47], v[132:133], s[50:51], v[46:47] op_sel:[0,0,1] op_sel_hi:[1,0,0] neg_lo:[0,0,1] neg_hi:[0,0,1]
	v_mov_b32_e32 v132, v54
	v_mov_b32_e32 v133, v47
	v_pk_add_f32 v[40:41], v[132:133], v[40:41]
	v_pk_fma_f32 v[132:133], v[134:135], s[10:11], v[58:59] op_sel:[0,0,1] op_sel_hi:[1,0,0]
	v_pk_fma_f32 v[58:59], v[134:135], s[10:11], v[58:59] op_sel:[0,0,1] op_sel_hi:[1,0,0] neg_lo:[0,0,1] neg_hi:[0,0,1]
	v_pk_add_f32 v[0:1], v[2:3], v[0:1]
	v_mov_b32_e32 v134, v132
	v_mov_b32_e32 v135, v59
	v_pk_add_f32 v[0:1], v[36:37], v[0:1]
	v_mov_b32_e32 v39, v49
	v_pk_add_f32 v[40:41], v[134:135], v[40:41]
	v_pk_fma_f32 v[134:135], v[56:57], s[46:47], v[60:61] op_sel:[0,0,1] op_sel_hi:[1,0,0]
	v_pk_fma_f32 v[56:57], v[56:57], s[46:47], v[60:61] op_sel:[0,0,1] op_sel_hi:[1,0,0] neg_lo:[0,0,1] neg_hi:[0,0,1]
	v_pk_add_f32 v[0:1], v[38:39], v[0:1]
	v_mov_b32_e32 v45, v53
	v_mov_b32_e32 v60, v134
	;; [unrolled: 1-line block ×3, first 2 shown]
	v_pk_add_f32 v[0:1], v[44:45], v[0:1]
	v_mov_b32_e32 v47, v55
	v_pk_add_f32 v[40:41], v[60:61], v[40:41]
	v_pk_mul_f32 v[60:61], v[62:63], s[40:41] op_sel_hi:[1,0]
	v_pk_add_f32 v[0:1], v[46:47], v[0:1]
	v_mov_b32_e32 v59, v133
	v_pk_fma_f32 v[62:63], v[138:139], s[8:9], v[60:61] op_sel:[0,0,1] op_sel_hi:[1,0,0]
	v_pk_fma_f32 v[60:61], v[138:139], s[8:9], v[60:61] op_sel:[0,0,1] op_sel_hi:[1,0,0] neg_lo:[0,0,1] neg_hi:[0,0,1]
	v_pk_add_f32 v[0:1], v[58:59], v[0:1]
	v_mov_b32_e32 v57, v135
	v_mov_b32_e32 v138, v62
	;; [unrolled: 1-line block ×3, first 2 shown]
	v_pk_add_f32 v[0:1], v[56:57], v[0:1]
	v_mov_b32_e32 v61, v63
	v_pk_add_f32 v[40:41], v[138:139], v[40:41]
	v_pk_add_f32 v[0:1], v[60:61], v[0:1]
	ds_write2_b64 v100, v[40:41], v[0:1] offset0:136 offset1:153
	v_pk_add_f32 v[0:1], v[2:3], v[230:231]
	v_pk_add_f32 v[4:5], v[2:3], v[192:193]
	;; [unrolled: 1-line block ×13, first 2 shown]
	v_mov_b32_e32 v235, v7
	v_pk_add_f32 v[4:5], v[222:223], v[4:5]
	v_pk_add_f32 v[0:1], v[234:235], v[0:1]
	;; [unrolled: 1-line block ×3, first 2 shown]
	ds_write2_b64 v100, v[0:1], v[4:5] offset0:170 offset1:187
	v_pk_add_f32 v[0:1], v[2:3], v[68:69]
	v_pk_add_f32 v[4:5], v[2:3], v[136:137]
	;; [unrolled: 1-line block ×6, first 2 shown]
	v_mov_b32_e32 v151, v149
	v_pk_add_f32 v[0:1], v[176:177], v[0:1]
	v_mov_b32_e32 v181, v179
	v_pk_add_f32 v[4:5], v[150:151], v[4:5]
	;; [unrolled: 2-line block ×9, first 2 shown]
	v_pk_add_f32 v[4:5], v[166:167], v[4:5]
	v_mov_b32_e32 v103, v105
	v_mov_b32_e32 v35, v23
	ds_write2_b64 v100, v[0:1], v[4:5] offset0:204 offset1:221
	v_mov_b32_e32 v107, v109
	v_pk_add_f32 v[0:1], v[2:3], v[102:103]
	v_mov_b32_e32 v79, v19
	v_pk_add_f32 v[4:5], v[2:3], v[34:35]
	v_pk_add_f32 v[0:1], v[106:107], v[0:1]
	v_mov_b32_e32 v113, v111
	v_pk_add_f32 v[4:5], v[78:79], v[4:5]
	v_mov_b32_e32 v95, v93
	;; [unrolled: 2-line block ×12, first 2 shown]
	v_pk_add_f32 v[0:1], v[130:131], v[0:1]
	v_pk_add_f32 v[4:5], v[98:99], v[4:5]
	v_mov_b32_e32 v81, v101
	ds_write2_b64 v100, v[0:1], v[4:5] offset0:238 offset1:255
	v_pk_add_f32 v[0:1], v[2:3], v[80:81]
	v_accvgpr_read_b32 v67, a37
	v_pk_add_f32 v[0:1], v[66:67], v[0:1]
	v_accvgpr_read_b32 v13, a39
	;; [unrolled: 2-line block ×4, first 2 shown]
	v_pk_add_f32 v[0:1], v[20:21], v[0:1]
	v_mov_b32_e32 v25, v191
	v_pk_add_f32 v[0:1], v[24:25], v[0:1]
	v_mov_b32_e32 v29, v27
	;; [unrolled: 2-line block ×3, first 2 shown]
	v_pk_add_f32 v[0:1], v[32:33], v[0:1]
	v_accvgpr_read_b32 v10, a8
	ds_write_b64 v100, v[0:1] offset:2176
	s_waitcnt lgkmcnt(0)
	s_barrier
	ds_read2_b64 v[0:3], v100 offset1:17
	v_mov_b32_e32 v6, s0
	v_mov_b32_e32 v7, s1
	v_mad_u64_u32 v[8:9], s[0:1], s6, v10, 0
	v_mov_b32_e32 v4, v9
	v_mad_u64_u32 v[4:5], s[0:1], s7, v10, v[4:5]
	v_accvgpr_read_b32 v10, a34
	v_accvgpr_read_b32 v11, a35
	v_mov_b32_e32 v9, v4
	s_waitcnt lgkmcnt(0)
	v_mul_f32_e32 v4, v11, v1
	v_fmac_f32_e32 v4, v10, v0
	v_mul_f32_e32 v0, v11, v0
	s_mov_b32 s0, 0xd10d4986
	v_fma_f32 v0, v10, v1, -v0
	v_cvt_f64_f32_e32 v[4:5], v4
	s_mov_b32 s1, 0x3f6c5894
	v_cvt_f64_f32_e32 v[0:1], v0
	v_mul_f64 v[4:5], v[4:5], s[0:1]
	v_mul_f64 v[0:1], v[0:1], s[0:1]
	v_accvgpr_read_b32 v11, a9
	v_cvt_f32_f64_e32 v4, v[4:5]
	v_cvt_f32_f64_e32 v5, v[0:1]
	v_mad_u64_u32 v[0:1], s[2:3], s4, v11, 0
	v_mov_b32_e32 v10, v1
	v_mad_u64_u32 v[10:11], s[2:3], s5, v11, v[10:11]
	v_lshl_add_u64 v[6:7], v[8:9], 3, v[6:7]
	v_accvgpr_read_b32 v8, a32
	v_mov_b32_e32 v1, v10
	v_accvgpr_read_b32 v9, a33
	v_lshl_add_u64 v[6:7], v[0:1], 3, v[6:7]
	v_mul_f32_e32 v0, v9, v3
	v_fmac_f32_e32 v0, v8, v2
	v_cvt_f64_f32_e32 v[0:1], v0
	v_mul_f64 v[0:1], v[0:1], s[0:1]
	global_store_dwordx2 v[6:7], v[4:5], off
	v_cvt_f32_f64_e32 v4, v[0:1]
	v_mul_f32_e32 v0, v9, v2
	v_fma_f32 v0, v8, v3, -v0
	v_cvt_f64_f32_e32 v[0:1], v0
	v_mul_f64 v[0:1], v[0:1], s[0:1]
	v_cvt_f32_f64_e32 v5, v[0:1]
	ds_read2_b64 v[0:3], v100 offset0:34 offset1:51
	v_mov_b32_e32 v10, 0x88
	v_mad_u64_u32 v[6:7], s[2:3], s4, v10, v[6:7]
	s_mul_i32 s2, s5, 0x88
	v_accvgpr_read_b32 v8, a30
	v_add_u32_e32 v7, s2, v7
	v_accvgpr_read_b32 v9, a31
	global_store_dwordx2 v[6:7], v[4:5], off
	s_waitcnt lgkmcnt(0)
	v_mul_f32_e32 v4, v9, v1
	v_fmac_f32_e32 v4, v8, v0
	v_mul_f32_e32 v0, v9, v0
	v_fma_f32 v0, v8, v1, -v0
	v_cvt_f64_f32_e32 v[4:5], v4
	v_cvt_f64_f32_e32 v[0:1], v0
	v_accvgpr_read_b32 v8, a28
	v_mul_f64 v[4:5], v[4:5], s[0:1]
	v_mul_f64 v[0:1], v[0:1], s[0:1]
	v_accvgpr_read_b32 v9, a29
	v_cvt_f32_f64_e32 v4, v[4:5]
	v_cvt_f32_f64_e32 v5, v[0:1]
	v_mul_f32_e32 v0, v9, v3
	v_fmac_f32_e32 v0, v8, v2
	v_mad_u64_u32 v[6:7], s[6:7], s4, v10, v[6:7]
	v_cvt_f64_f32_e32 v[0:1], v0
	v_add_u32_e32 v7, s2, v7
	v_mul_f64 v[0:1], v[0:1], s[0:1]
	global_store_dwordx2 v[6:7], v[4:5], off
	v_cvt_f32_f64_e32 v4, v[0:1]
	v_mul_f32_e32 v0, v9, v2
	v_fma_f32 v0, v8, v3, -v0
	v_cvt_f64_f32_e32 v[0:1], v0
	v_mul_f64 v[0:1], v[0:1], s[0:1]
	v_cvt_f32_f64_e32 v5, v[0:1]
	ds_read2_b64 v[0:3], v100 offset0:68 offset1:85
	v_mov_b32_e32 v10, 0x88
	v_mad_u64_u32 v[6:7], s[6:7], s4, v10, v[6:7]
	v_accvgpr_read_b32 v8, a26
	v_add_u32_e32 v7, s2, v7
	v_accvgpr_read_b32 v9, a27
	global_store_dwordx2 v[6:7], v[4:5], off
	s_waitcnt lgkmcnt(0)
	v_mul_f32_e32 v4, v9, v1
	v_fmac_f32_e32 v4, v8, v0
	v_mul_f32_e32 v0, v9, v0
	v_fma_f32 v0, v8, v1, -v0
	v_cvt_f64_f32_e32 v[4:5], v4
	v_cvt_f64_f32_e32 v[0:1], v0
	v_accvgpr_read_b32 v8, a24
	v_mul_f64 v[4:5], v[4:5], s[0:1]
	v_mul_f64 v[0:1], v[0:1], s[0:1]
	v_accvgpr_read_b32 v9, a25
	v_cvt_f32_f64_e32 v4, v[4:5]
	v_cvt_f32_f64_e32 v5, v[0:1]
	v_mul_f32_e32 v0, v9, v3
	v_fmac_f32_e32 v0, v8, v2
	v_mad_u64_u32 v[6:7], s[6:7], s4, v10, v[6:7]
	v_cvt_f64_f32_e32 v[0:1], v0
	v_add_u32_e32 v7, s2, v7
	v_mul_f64 v[0:1], v[0:1], s[0:1]
	global_store_dwordx2 v[6:7], v[4:5], off
	v_cvt_f32_f64_e32 v4, v[0:1]
	v_mul_f32_e32 v0, v9, v2
	v_fma_f32 v0, v8, v3, -v0
	v_cvt_f64_f32_e32 v[0:1], v0
	v_mul_f64 v[0:1], v[0:1], s[0:1]
	v_cvt_f32_f64_e32 v5, v[0:1]
	ds_read2_b64 v[0:3], v100 offset0:102 offset1:119
	v_mad_u64_u32 v[6:7], s[6:7], s4, v10, v[6:7]
	v_accvgpr_read_b32 v8, a22
	v_add_u32_e32 v7, s2, v7
	v_accvgpr_read_b32 v9, a23
	global_store_dwordx2 v[6:7], v[4:5], off
	s_waitcnt lgkmcnt(0)
	v_mul_f32_e32 v4, v9, v1
	v_fmac_f32_e32 v4, v8, v0
	v_mul_f32_e32 v0, v9, v0
	v_fma_f32 v0, v8, v1, -v0
	v_cvt_f64_f32_e32 v[4:5], v4
	v_cvt_f64_f32_e32 v[0:1], v0
	v_accvgpr_read_b32 v8, a20
	v_mul_f64 v[4:5], v[4:5], s[0:1]
	v_mul_f64 v[0:1], v[0:1], s[0:1]
	v_accvgpr_read_b32 v9, a21
	v_cvt_f32_f64_e32 v4, v[4:5]
	v_cvt_f32_f64_e32 v5, v[0:1]
	v_mul_f32_e32 v0, v9, v3
	v_fmac_f32_e32 v0, v8, v2
	v_mad_u64_u32 v[6:7], s[6:7], s4, v10, v[6:7]
	v_cvt_f64_f32_e32 v[0:1], v0
	v_add_u32_e32 v7, s2, v7
	v_mul_f64 v[0:1], v[0:1], s[0:1]
	global_store_dwordx2 v[6:7], v[4:5], off
	v_cvt_f32_f64_e32 v4, v[0:1]
	v_mul_f32_e32 v0, v9, v2
	v_fma_f32 v0, v8, v3, -v0
	v_cvt_f64_f32_e32 v[0:1], v0
	v_mul_f64 v[0:1], v[0:1], s[0:1]
	v_cvt_f32_f64_e32 v5, v[0:1]
	ds_read2_b64 v[0:3], v100 offset0:136 offset1:153
	;; [unrolled: 32-line block ×4, first 2 shown]
	v_mad_u64_u32 v[6:7], s[6:7], s4, v10, v[6:7]
	v_accvgpr_read_b32 v8, a10
	v_add_u32_e32 v7, s2, v7
	v_accvgpr_read_b32 v9, a11
	global_store_dwordx2 v[6:7], v[4:5], off
	s_waitcnt lgkmcnt(0)
	v_mul_f32_e32 v4, v9, v1
	v_fmac_f32_e32 v4, v8, v0
	v_mul_f32_e32 v0, v9, v0
	v_fma_f32 v0, v8, v1, -v0
	v_cvt_f64_f32_e32 v[4:5], v4
	v_cvt_f64_f32_e32 v[0:1], v0
	v_mul_f64 v[4:5], v[4:5], s[0:1]
	v_mul_f64 v[0:1], v[0:1], s[0:1]
	v_accvgpr_read_b32 v9, a7
	v_cvt_f32_f64_e32 v4, v[4:5]
	v_cvt_f32_f64_e32 v5, v[0:1]
	v_accvgpr_read_b32 v8, a6
	v_mul_f32_e32 v0, v9, v3
	v_fmac_f32_e32 v0, v8, v2
	v_mad_u64_u32 v[6:7], s[6:7], s4, v10, v[6:7]
	v_cvt_f64_f32_e32 v[0:1], v0
	v_add_u32_e32 v7, s2, v7
	v_mul_f64 v[0:1], v[0:1], s[0:1]
	global_store_dwordx2 v[6:7], v[4:5], off
	v_cvt_f32_f64_e32 v4, v[0:1]
	v_mul_f32_e32 v0, v9, v2
	v_fma_f32 v0, v8, v3, -v0
	v_cvt_f64_f32_e32 v[0:1], v0
	v_mul_f64 v[0:1], v[0:1], s[0:1]
	v_cvt_f32_f64_e32 v5, v[0:1]
	ds_read2_b64 v[0:3], v100 offset0:238 offset1:255
	v_mad_u64_u32 v[6:7], s[6:7], s4, v10, v[6:7]
	v_add_u32_e32 v7, s2, v7
	v_accvgpr_read_b32 v9, a5
	global_store_dwordx2 v[6:7], v[4:5], off
	v_accvgpr_read_b32 v8, a4
	s_waitcnt lgkmcnt(0)
	v_mul_f32_e32 v4, v9, v1
	v_fmac_f32_e32 v4, v8, v0
	v_mul_f32_e32 v0, v9, v0
	v_fma_f32 v0, v8, v1, -v0
	v_cvt_f64_f32_e32 v[4:5], v4
	v_cvt_f64_f32_e32 v[0:1], v0
	v_mul_f64 v[4:5], v[4:5], s[0:1]
	v_mul_f64 v[0:1], v[0:1], s[0:1]
	v_cvt_f32_f64_e32 v4, v[4:5]
	v_cvt_f32_f64_e32 v5, v[0:1]
	v_mad_u64_u32 v[0:1], s[6:7], s4, v10, v[6:7]
	v_add_u32_e32 v1, s2, v1
	v_accvgpr_read_b32 v7, a3
	global_store_dwordx2 v[0:1], v[4:5], off
	v_accvgpr_read_b32 v6, a2
	v_mul_f32_e32 v4, v7, v3
	v_fmac_f32_e32 v4, v6, v2
	v_mul_f32_e32 v2, v7, v2
	v_fma_f32 v2, v6, v3, -v2
	v_cvt_f64_f32_e32 v[4:5], v4
	v_cvt_f64_f32_e32 v[2:3], v2
	v_mul_f64 v[4:5], v[4:5], s[0:1]
	v_mul_f64 v[2:3], v[2:3], s[0:1]
	v_cvt_f32_f64_e32 v4, v[4:5]
	v_cvt_f32_f64_e32 v5, v[2:3]
	ds_read_b64 v[2:3], v100 offset:2176
	v_mad_u64_u32 v[0:1], s[6:7], s4, v10, v[0:1]
	v_add_u32_e32 v1, s2, v1
	v_accvgpr_read_b32 v7, a1
	global_store_dwordx2 v[0:1], v[4:5], off
	v_accvgpr_read_b32 v6, a0
	s_waitcnt lgkmcnt(0)
	v_mul_f32_e32 v4, v7, v3
	v_fmac_f32_e32 v4, v6, v2
	v_mul_f32_e32 v2, v7, v2
	v_fma_f32 v2, v6, v3, -v2
	v_cvt_f64_f32_e32 v[4:5], v4
	v_cvt_f64_f32_e32 v[2:3], v2
	v_mul_f64 v[4:5], v[4:5], s[0:1]
	v_mul_f64 v[2:3], v[2:3], s[0:1]
	v_mad_u64_u32 v[0:1], s[0:1], s4, v10, v[0:1]
	v_cvt_f32_f64_e32 v4, v[4:5]
	v_cvt_f32_f64_e32 v5, v[2:3]
	v_add_u32_e32 v1, s2, v1
	global_store_dwordx2 v[0:1], v[4:5], off
.LBB0_2:
	s_endpgm
	.section	.rodata,"a",@progbits
	.p2align	6, 0x0
	.amdhsa_kernel bluestein_single_fwd_len289_dim1_sp_op_CI_CI
		.amdhsa_group_segment_fixed_size 16184
		.amdhsa_private_segment_fixed_size 0
		.amdhsa_kernarg_size 104
		.amdhsa_user_sgpr_count 2
		.amdhsa_user_sgpr_dispatch_ptr 0
		.amdhsa_user_sgpr_queue_ptr 0
		.amdhsa_user_sgpr_kernarg_segment_ptr 1
		.amdhsa_user_sgpr_dispatch_id 0
		.amdhsa_user_sgpr_kernarg_preload_length 0
		.amdhsa_user_sgpr_kernarg_preload_offset 0
		.amdhsa_user_sgpr_private_segment_size 0
		.amdhsa_uses_dynamic_stack 0
		.amdhsa_enable_private_segment 0
		.amdhsa_system_sgpr_workgroup_id_x 1
		.amdhsa_system_sgpr_workgroup_id_y 0
		.amdhsa_system_sgpr_workgroup_id_z 0
		.amdhsa_system_sgpr_workgroup_info 0
		.amdhsa_system_vgpr_workitem_id 0
		.amdhsa_next_free_vgpr 358
		.amdhsa_next_free_sgpr 76
		.amdhsa_accum_offset 256
		.amdhsa_reserve_vcc 1
		.amdhsa_float_round_mode_32 0
		.amdhsa_float_round_mode_16_64 0
		.amdhsa_float_denorm_mode_32 3
		.amdhsa_float_denorm_mode_16_64 3
		.amdhsa_dx10_clamp 1
		.amdhsa_ieee_mode 1
		.amdhsa_fp16_overflow 0
		.amdhsa_tg_split 0
		.amdhsa_exception_fp_ieee_invalid_op 0
		.amdhsa_exception_fp_denorm_src 0
		.amdhsa_exception_fp_ieee_div_zero 0
		.amdhsa_exception_fp_ieee_overflow 0
		.amdhsa_exception_fp_ieee_underflow 0
		.amdhsa_exception_fp_ieee_inexact 0
		.amdhsa_exception_int_div_zero 0
	.end_amdhsa_kernel
	.text
.Lfunc_end0:
	.size	bluestein_single_fwd_len289_dim1_sp_op_CI_CI, .Lfunc_end0-bluestein_single_fwd_len289_dim1_sp_op_CI_CI
                                        ; -- End function
	.section	.AMDGPU.csdata,"",@progbits
; Kernel info:
; codeLenInByte = 23084
; NumSgprs: 82
; NumVgprs: 256
; NumAgprs: 102
; TotalNumVgprs: 358
; ScratchSize: 0
; MemoryBound: 0
; FloatMode: 240
; IeeeMode: 1
; LDSByteSize: 16184 bytes/workgroup (compile time only)
; SGPRBlocks: 10
; VGPRBlocks: 44
; NumSGPRsForWavesPerEU: 82
; NumVGPRsForWavesPerEU: 358
; AccumOffset: 256
; Occupancy: 1
; WaveLimiterHint : 1
; COMPUTE_PGM_RSRC2:SCRATCH_EN: 0
; COMPUTE_PGM_RSRC2:USER_SGPR: 2
; COMPUTE_PGM_RSRC2:TRAP_HANDLER: 0
; COMPUTE_PGM_RSRC2:TGID_X_EN: 1
; COMPUTE_PGM_RSRC2:TGID_Y_EN: 0
; COMPUTE_PGM_RSRC2:TGID_Z_EN: 0
; COMPUTE_PGM_RSRC2:TIDIG_COMP_CNT: 0
; COMPUTE_PGM_RSRC3_GFX90A:ACCUM_OFFSET: 63
; COMPUTE_PGM_RSRC3_GFX90A:TG_SPLIT: 0
	.text
	.p2alignl 6, 3212836864
	.fill 256, 4, 3212836864
	.type	__hip_cuid_9e22ad3cc29c62f2,@object ; @__hip_cuid_9e22ad3cc29c62f2
	.section	.bss,"aw",@nobits
	.globl	__hip_cuid_9e22ad3cc29c62f2
__hip_cuid_9e22ad3cc29c62f2:
	.byte	0                               ; 0x0
	.size	__hip_cuid_9e22ad3cc29c62f2, 1

	.ident	"AMD clang version 19.0.0git (https://github.com/RadeonOpenCompute/llvm-project roc-6.4.0 25133 c7fe45cf4b819c5991fe208aaa96edf142730f1d)"
	.section	".note.GNU-stack","",@progbits
	.addrsig
	.addrsig_sym __hip_cuid_9e22ad3cc29c62f2
	.amdgpu_metadata
---
amdhsa.kernels:
  - .agpr_count:     102
    .args:
      - .actual_access:  read_only
        .address_space:  global
        .offset:         0
        .size:           8
        .value_kind:     global_buffer
      - .actual_access:  read_only
        .address_space:  global
        .offset:         8
        .size:           8
        .value_kind:     global_buffer
      - .actual_access:  read_only
        .address_space:  global
        .offset:         16
        .size:           8
        .value_kind:     global_buffer
      - .actual_access:  read_only
        .address_space:  global
        .offset:         24
        .size:           8
        .value_kind:     global_buffer
      - .actual_access:  read_only
        .address_space:  global
        .offset:         32
        .size:           8
        .value_kind:     global_buffer
      - .offset:         40
        .size:           8
        .value_kind:     by_value
      - .address_space:  global
        .offset:         48
        .size:           8
        .value_kind:     global_buffer
      - .address_space:  global
        .offset:         56
        .size:           8
        .value_kind:     global_buffer
      - .address_space:  global
        .offset:         64
        .size:           8
        .value_kind:     global_buffer
      - .address_space:  global
        .offset:         72
        .size:           8
        .value_kind:     global_buffer
      - .offset:         80
        .size:           4
        .value_kind:     by_value
      - .address_space:  global
        .offset:         88
        .size:           8
        .value_kind:     global_buffer
      - .address_space:  global
        .offset:         96
        .size:           8
        .value_kind:     global_buffer
    .group_segment_fixed_size: 16184
    .kernarg_segment_align: 8
    .kernarg_segment_size: 104
    .language:       OpenCL C
    .language_version:
      - 2
      - 0
    .max_flat_workgroup_size: 119
    .name:           bluestein_single_fwd_len289_dim1_sp_op_CI_CI
    .private_segment_fixed_size: 0
    .sgpr_count:     82
    .sgpr_spill_count: 0
    .symbol:         bluestein_single_fwd_len289_dim1_sp_op_CI_CI.kd
    .uniform_work_group_size: 1
    .uses_dynamic_stack: false
    .vgpr_count:     358
    .vgpr_spill_count: 0
    .wavefront_size: 64
amdhsa.target:   amdgcn-amd-amdhsa--gfx950
amdhsa.version:
  - 1
  - 2
...

	.end_amdgpu_metadata
